;; amdgpu-corpus repo=ROCm/rocFFT kind=compiled arch=gfx950 opt=O3
	.text
	.amdgcn_target "amdgcn-amd-amdhsa--gfx950"
	.amdhsa_code_object_version 6
	.protected	bluestein_single_fwd_len1848_dim1_sp_op_CI_CI ; -- Begin function bluestein_single_fwd_len1848_dim1_sp_op_CI_CI
	.globl	bluestein_single_fwd_len1848_dim1_sp_op_CI_CI
	.p2align	8
	.type	bluestein_single_fwd_len1848_dim1_sp_op_CI_CI,@function
bluestein_single_fwd_len1848_dim1_sp_op_CI_CI: ; @bluestein_single_fwd_len1848_dim1_sp_op_CI_CI
; %bb.0:
	s_load_dwordx4 s[8:11], s[0:1], 0x28
	v_mul_u32_u24_e32 v1, 0x11c, v0
	v_mov_b32_e32 v67, 0
	v_add_u32_sdwa v68, s2, v1 dst_sel:DWORD dst_unused:UNUSED_PAD src0_sel:DWORD src1_sel:WORD_1
	v_mov_b32_e32 v69, v67
	s_waitcnt lgkmcnt(0)
	v_cmp_gt_u64_e32 vcc, s[8:9], v[68:69]
	s_and_saveexec_b64 s[2:3], vcc
	s_cbranch_execz .LBB0_33
; %bb.1:
	s_load_dwordx4 s[4:7], s[0:1], 0x18
	s_load_dwordx2 s[18:19], s[0:1], 0x0
	v_mov_b32_e32 v2, s10
	v_mov_b32_e32 v3, s11
	s_movk_i32 s2, 0xe7
	s_waitcnt lgkmcnt(0)
	s_load_dwordx4 s[8:11], s[4:5], 0x0
	v_mul_lo_u16_sdwa v1, v1, s2 dst_sel:DWORD dst_unused:UNUSED_PAD src0_sel:WORD_1 src1_sel:DWORD
	v_sub_u16_e32 v66, v0, v1
	v_lshlrev_b32_e32 v62, 3, v66
	v_mov_b32_e32 v63, v67
	s_waitcnt lgkmcnt(0)
	v_mad_u64_u32 v[0:1], s[2:3], s10, v68, 0
	v_mov_b32_e32 v4, v1
	v_mad_u64_u32 v[4:5], s[2:3], s11, v68, v[4:5]
	v_mov_b32_e32 v1, v4
	v_mad_u64_u32 v[4:5], s[2:3], s8, v66, 0
	v_mov_b32_e32 v6, v5
	v_mad_u64_u32 v[6:7], s[2:3], s9, v66, v[6:7]
	v_lshl_add_u64 v[64:65], s[18:19], 0, v[62:63]
	s_mul_i32 s2, s9, 0x268
	s_mul_hi_u32 s3, s8, 0x268
	s_movk_i32 s4, 0x1000
	v_mov_b32_e32 v5, v6
	v_lshl_add_u64 v[0:1], v[0:1], 3, v[2:3]
	s_add_i32 s3, s3, s2
	s_mul_i32 s2, s8, 0x268
	v_add_co_u32_e32 v8, vcc, s4, v64
	v_lshl_add_u64 v[0:1], v[4:5], 3, v[0:1]
	global_load_dwordx2 v[80:81], v62, s[18:19]
	s_lshl_b64 s[2:3], s[2:3], 3
	v_addc_co_u32_e32 v9, vcc, 0, v65, vcc
	s_movk_i32 s4, 0x2000
	s_mul_hi_u32 s5, s8, 0xfffffc17
	v_lshl_add_u64 v[2:3], v[0:1], 0, s[2:3]
	global_load_dwordx2 v[4:5], v[0:1], off
	global_load_dwordx2 v[6:7], v[2:3], off
	global_load_dwordx2 v[78:79], v[8:9], off offset:832
	v_add_co_u32_e32 v0, vcc, s4, v64
	s_mul_i32 s4, s9, 0xfffffc17
	s_sub_i32 s5, s5, s8
	v_lshl_add_u64 v[2:3], v[2:3], 0, s[2:3]
	v_addc_co_u32_e32 v1, vcc, 0, v65, vcc
	s_add_i32 s5, s5, s4
	s_mul_i32 s4, s8, 0xfffffc17
	global_load_dwordx2 v[10:11], v[2:3], off
	global_load_dwordx2 v[74:75], v[0:1], off offset:1664
	v_lshl_add_u64 v[2:3], s[4:5], 3, v[2:3]
	global_load_dwordx2 v[76:77], v62, s[18:19] offset:1848
	global_load_dwordx2 v[12:13], v[2:3], off
	v_lshl_add_u64 v[2:3], v[2:3], 0, s[2:3]
	global_load_dwordx2 v[14:15], v[2:3], off
	global_load_dwordx2 v[72:73], v[8:9], off offset:2680
	v_lshl_add_u64 v[2:3], v[2:3], 0, s[2:3]
	global_load_dwordx2 v[70:71], v[0:1], off offset:3512
	global_load_dwordx2 v[8:9], v[2:3], off
	s_load_dwordx2 s[16:17], s[0:1], 0x38
	s_load_dwordx4 s[12:15], s[6:7], 0x0
	s_movk_i32 s8, 0x9a
	v_cmp_gt_u16_e64 s[10:11], s8, v66
	s_waitcnt vmcnt(10)
	v_mul_f32_e32 v16, v5, v81
	v_mul_f32_e32 v17, v4, v81
	v_fmac_f32_e32 v16, v4, v80
	v_fma_f32 v17, v5, v80, -v17
	s_waitcnt vmcnt(8)
	v_mul_f32_e32 v4, v7, v79
	v_mul_f32_e32 v5, v6, v79
	v_fmac_f32_e32 v4, v6, v78
	v_fma_f32 v5, v7, v78, -v5
	ds_write_b64 v62, v[4:5] offset:4928
	s_waitcnt vmcnt(6)
	v_mul_f32_e32 v6, v11, v75
	v_mul_f32_e32 v7, v10, v75
	s_waitcnt vmcnt(4)
	v_mul_f32_e32 v4, v13, v77
	v_mul_f32_e32 v5, v12, v77
	v_fmac_f32_e32 v6, v10, v74
	v_fma_f32 v7, v11, v74, -v7
	v_fmac_f32_e32 v4, v12, v76
	v_fma_f32 v5, v13, v76, -v5
	ds_write_b64 v62, v[6:7] offset:9856
	s_waitcnt vmcnt(2)
	v_mul_f32_e32 v6, v15, v73
	v_mul_f32_e32 v7, v14, v73
	ds_write2_b64 v62, v[16:17], v[4:5] offset1:231
	s_waitcnt vmcnt(0)
	v_mul_f32_e32 v4, v9, v71
	v_mul_f32_e32 v5, v8, v71
	v_fmac_f32_e32 v6, v14, v72
	v_fma_f32 v7, v15, v72, -v7
	v_fmac_f32_e32 v4, v8, v70
	v_fma_f32 v5, v9, v70, -v5
	ds_write_b64 v62, v[6:7] offset:6776
	ds_write_b64 v62, v[4:5] offset:11704
	s_and_saveexec_b64 s[6:7], s[10:11]
	s_cbranch_execz .LBB0_3
; %bb.2:
	v_lshl_add_u64 v[2:3], s[4:5], 3, v[2:3]
	global_load_dwordx2 v[4:5], v[2:3], off
	v_lshl_add_u64 v[2:3], v[2:3], 0, s[2:3]
	global_load_dwordx2 v[6:7], v[2:3], off
	global_load_dwordx2 v[8:9], v[64:65], off offset:3696
	global_load_dwordx2 v[10:11], v[0:1], off offset:432
	v_lshl_add_u64 v[0:1], v[2:3], 0, s[2:3]
	v_add_co_u32_e32 v2, vcc, 0x3000, v64
	s_nop 1
	v_addc_co_u32_e32 v3, vcc, 0, v65, vcc
	global_load_dwordx2 v[12:13], v[2:3], off offset:1264
	global_load_dwordx2 v[14:15], v[0:1], off
	s_waitcnt vmcnt(3)
	v_mul_f32_e32 v0, v5, v9
	v_mul_f32_e32 v1, v4, v9
	v_fmac_f32_e32 v0, v4, v8
	v_fma_f32 v1, v5, v8, -v1
	s_waitcnt vmcnt(2)
	v_mul_f32_e32 v2, v7, v11
	v_mul_f32_e32 v3, v6, v11
	ds_write_b64 v62, v[0:1] offset:3696
	v_fmac_f32_e32 v2, v6, v10
	s_waitcnt vmcnt(0)
	v_mul_f32_e32 v0, v15, v13
	v_mul_f32_e32 v1, v14, v13
	v_fma_f32 v3, v7, v10, -v3
	v_fmac_f32_e32 v0, v14, v12
	v_fma_f32 v1, v15, v12, -v1
	ds_write_b64 v62, v[2:3] offset:8624
	ds_write_b64 v62, v[0:1] offset:13552
.LBB0_3:
	s_or_b64 exec, exec, s[6:7]
	v_add_u32_e32 v0, 0x1300, v62
	s_waitcnt lgkmcnt(0)
	s_barrier
	ds_read2_b64 v[8:11], v0 offset0:8 offset1:239
	v_add_u32_e32 v0, 0x2600, v62
	ds_read2_b64 v[4:7], v62 offset1:231
	ds_read2_b64 v[12:15], v0 offset0:16 offset1:247
                                        ; implicit-def: $vgpr16
                                        ; implicit-def: $vgpr22
                                        ; implicit-def: $vgpr18
	s_and_saveexec_b64 s[2:3], s[10:11]
	s_cbranch_execz .LBB0_5
; %bb.4:
	ds_read_b64 v[18:19], v62 offset:3696
	ds_read_b64 v[16:17], v62 offset:8624
	;; [unrolled: 1-line block ×3, first 2 shown]
.LBB0_5:
	s_or_b64 exec, exec, s[2:3]
	s_mov_b64 s[2:3], 0xe7
	v_lshl_add_u64 v[32:33], v[66:67], 0, s[2:3]
	s_mov_b64 s[2:3], 0x1ce
	s_waitcnt lgkmcnt(0)
	v_pk_add_f32 v[2:3], v[8:9], v[12:13]
	v_lshl_add_u64 v[26:27], v[66:67], 0, s[2:3]
	v_pk_add_f32 v[0:1], v[4:5], v[8:9]
	v_pk_fma_f32 v[2:3], v[2:3], 0.5, v[4:5] op_sel_hi:[1,0,1] neg_lo:[1,0,0] neg_hi:[1,0,0]
	v_pk_add_f32 v[4:5], v[8:9], v[12:13] neg_lo:[0,1] neg_hi:[0,1]
	s_mov_b32 s2, 0x3f5db3d7
	v_pk_mul_f32 v[8:9], v[4:5], s[2:3] op_sel_hi:[1,0]
	v_pk_add_f32 v[0:1], v[0:1], v[12:13]
	v_pk_add_f32 v[4:5], v[2:3], v[8:9] op_sel:[0,1] op_sel_hi:[1,0] neg_lo:[0,1] neg_hi:[0,1]
	v_pk_add_f32 v[34:35], v[8:9], v[2:3] op_sel:[1,0] op_sel_hi:[0,1]
	v_pk_add_f32 v[8:9], v[10:11], v[14:15]
	v_pk_add_f32 v[12:13], v[10:11], v[14:15] neg_lo:[0,1] neg_hi:[0,1]
	v_pk_add_f32 v[2:3], v[6:7], v[10:11]
	v_pk_fma_f32 v[6:7], v[8:9], 0.5, v[6:7] op_sel_hi:[1,0,1] neg_lo:[1,0,0] neg_hi:[1,0,0]
	v_pk_mul_f32 v[8:9], v[12:13], s[2:3] op_sel_hi:[1,0]
	v_mul_u32_u24_e32 v40, 3, v66
	v_pk_add_f32 v[10:11], v[6:7], v[8:9] op_sel:[0,1] op_sel_hi:[1,0] neg_lo:[0,1] neg_hi:[0,1]
	v_pk_add_f32 v[42:43], v[8:9], v[6:7] op_sel:[1,0] op_sel_hi:[0,1]
	v_pk_add_f32 v[8:9], v[16:17], v[18:19]
	v_pk_add_f32 v[6:7], v[16:17], v[22:23] neg_lo:[0,1] neg_hi:[0,1]
	v_pk_add_f32 v[20:21], v[22:23], v[8:9]
	v_pk_add_f32 v[8:9], v[22:23], v[16:17]
	v_pk_mul_f32 v[6:7], v[6:7], s[2:3] op_sel_hi:[1,0]
	v_pk_fma_f32 v[8:9], v[8:9], 0.5, v[18:19] op_sel_hi:[1,0,1] neg_lo:[1,0,0] neg_hi:[1,0,0]
	v_lshlrev_b32_e32 v67, 3, v40
	v_pk_add_f32 v[24:25], v[8:9], v[6:7] op_sel:[0,1] op_sel_hi:[1,0] neg_lo:[0,1] neg_hi:[0,1]
	v_pk_add_f32 v[48:49], v[6:7], v[8:9] op_sel:[1,0] op_sel_hi:[0,1]
	v_mov_b32_e32 v6, v34
	v_mov_b32_e32 v7, v5
	s_barrier
	ds_write2_b64 v67, v[0:1], v[6:7] offset1:1
	v_mov_b32_e32 v6, v4
	v_mov_b32_e32 v7, v35
	ds_write_b64 v67, v[6:7] offset:16
	v_mul_u32_u24_e32 v6, 3, v32
	v_pk_add_f32 v[2:3], v[2:3], v[14:15]
	v_lshlrev_b32_e32 v69, 3, v6
	v_mov_b32_e32 v6, v42
	v_mov_b32_e32 v7, v11
	ds_write2_b64 v69, v[2:3], v[6:7] offset1:1
	v_mov_b32_e32 v6, v10
	v_mov_b32_e32 v7, v43
	v_mul_u32_u24_e32 v174, 3, v26
	ds_write_b64 v69, v[6:7] offset:16
	s_and_saveexec_b64 s[2:3], s[10:11]
	s_cbranch_execz .LBB0_7
; %bb.6:
	v_lshlrev_b32_e32 v8, 3, v174
	v_mov_b32_e32 v6, v48
	v_mov_b32_e32 v7, v25
	ds_write2_b64 v8, v[20:21], v[6:7] offset1:1
	v_mov_b32_e32 v6, v24
	v_mov_b32_e32 v7, v49
	ds_write_b64 v8, v[6:7] offset:16
.LBB0_7:
	s_or_b64 exec, exec, s[2:3]
	s_load_dwordx2 s[0:1], s[0:1], 0x8
	s_movk_i32 s2, 0xa8
	s_movk_i32 s4, 0xa7
	v_cmp_gt_u16_e64 s[2:3], s2, v66
	v_cmp_lt_u16_e64 s[6:7], s4, v66
	s_waitcnt lgkmcnt(0)
	s_barrier
	s_and_saveexec_b64 s[4:5], s[6:7]
	s_xor_b64 s[4:5], exec, s[4:5]
	s_or_saveexec_b64 s[4:5], s[4:5]
                                        ; implicit-def: $vgpr50
                                        ; implicit-def: $vgpr6
                                        ; implicit-def: $vgpr8
	s_xor_b64 exec, exec, s[4:5]
	s_cbranch_execz .LBB0_9
; %bb.8:
	v_add_u32_e32 v6, 0x1e00, v62
	v_add_u32_e32 v4, 0x800, v62
	;; [unrolled: 1-line block ×3, first 2 shown]
	ds_read2_b64 v[20:23], v6 offset0:48 offset1:216
	v_add_u32_e32 v6, 0x2800, v62
	ds_read2_b64 v[0:3], v62 offset1:168
	ds_read2_b64 v[24:27], v6 offset0:64 offset1:232
	ds_read2_b64 v[8:11], v5 offset0:32 offset1:200
	;; [unrolled: 1-line block ×3, first 2 shown]
	ds_read_b64 v[50:51], v62 offset:13440
	s_waitcnt lgkmcnt(5)
	v_mov_b32_e32 v48, v22
	s_waitcnt lgkmcnt(3)
	v_mov_b32_e32 v49, v25
	;; [unrolled: 2-line block ×3, first 2 shown]
	v_mov_b32_e32 v43, v11
	v_mov_b32_e32 v34, v2
	s_waitcnt lgkmcnt(1)
	v_mov_b32_e32 v35, v5
	v_mov_b32_e32 v25, v23
	;; [unrolled: 1-line block ×4, first 2 shown]
	v_mov_b64_e32 v[2:3], v[6:7]
	s_waitcnt lgkmcnt(0)
	v_mov_b32_e32 v6, v51
	v_mov_b32_e32 v8, v27
.LBB0_9:
	s_or_b64 exec, exec, s[4:5]
	s_movk_i32 s4, 0xab
	v_mul_lo_u16_sdwa v7, v66, s4 dst_sel:DWORD dst_unused:UNUSED_PAD src0_sel:BYTE_0 src1_sel:DWORD
	v_lshrrev_b16_e32 v33, 9, v7
	v_mul_lo_u16_e32 v7, 3, v33
	v_sub_u16_e32 v7, v66, v7
	v_and_b32_e32 v63, 0xff, v7
	v_mul_u32_u24_e32 v7, 10, v63
	v_lshlrev_b32_e32 v7, 3, v7
	global_load_dwordx4 v[12:15], v7, s[0:1] offset:32
	global_load_dwordx4 v[16:19], v7, s[0:1] offset:16
	;; [unrolled: 1-line block ×4, first 2 shown]
	global_load_dwordx4 v[44:47], v7, s[0:1]
	s_mov_b32 s28, 0xbf0a6770
	s_mov_b32 s4, 0x3f575c64
	;; [unrolled: 1-line block ×12, first 2 shown]
	v_mul_u32_u24_e32 v216, 33, v33
	s_barrier
	s_waitcnt vmcnt(4)
	v_pk_mul_f32 v[22:23], v[20:21], v[14:15] op_sel:[1,0]
	s_nop 0
	v_pk_fma_f32 v[54:55], v[20:21], v[14:15], v[22:23] op_sel:[0,0,1] op_sel_hi:[1,1,0] neg_lo:[0,0,1] neg_hi:[0,0,1]
	s_waitcnt vmcnt(2)
	v_pk_mul_f32 v[8:9], v[8:9], v[28:29] op_sel_hi:[0,1]
	s_waitcnt vmcnt(1)
	v_pk_mul_f32 v[82:83], v[48:49], v[38:39] op_sel:[1,0]
	v_pk_mul_f32 v[86:87], v[24:25], v[36:37] op_sel:[1,0]
	s_waitcnt vmcnt(0)
	v_pk_mul_f32 v[88:89], v[4:5], v[44:45] op_sel:[1,0]
	v_pk_mul_f32 v[6:7], v[6:7], v[30:31] op_sel_hi:[0,1]
	v_pk_mul_f32 v[84:85], v[34:35], v[46:47] op_sel:[1,0]
	v_pk_fma_f32 v[20:21], v[20:21], v[14:15], v[22:23] op_sel:[0,0,1] op_sel_hi:[0,1,0]
	v_pk_fma_f32 v[58:59], v[24:25], v[38:39], v[82:83] op_sel:[0,0,1] op_sel_hi:[1,1,0] neg_lo:[0,0,1] neg_hi:[0,0,1]
	v_pk_fma_f32 v[22:23], v[24:25], v[38:39], v[82:83] op_sel:[0,0,1] op_sel_hi:[0,1,0]
	v_pk_fma_f32 v[24:25], v[26:27], v[28:29], v[8:9] op_sel:[0,0,1] op_sel_hi:[1,1,0] neg_lo:[0,0,1] neg_hi:[0,0,1]
	;; [unrolled: 2-line block ×5, first 2 shown]
	v_pk_fma_f32 v[6:7], v[50:51], v[30:31], v[6:7] op_sel:[0,0,1] op_sel_hi:[0,1,0]
	v_pk_mul_f32 v[92:93], v[2:3], v[16:17] op_sel:[1,0]
	v_pk_fma_f32 v[82:83], v[4:5], v[46:47], v[84:85] op_sel:[0,0,1] op_sel_hi:[1,1,0] neg_lo:[0,0,1] neg_hi:[0,0,1]
	v_pk_fma_f32 v[4:5], v[4:5], v[46:47], v[84:85] op_sel:[0,0,1] op_sel_hi:[0,1,0]
	v_mov_b32_e32 v91, v35
	v_mov_b32_e32 v87, v7
	v_pk_mul_f32 v[52:53], v[42:43], v[12:13] op_sel:[1,0]
	v_pk_fma_f32 v[88:89], v[2:3], v[16:17], v[92:93] op_sel:[0,0,1] op_sel_hi:[1,1,0] neg_lo:[0,0,1] neg_hi:[0,0,1]
	v_pk_fma_f32 v[2:3], v[2:3], v[16:17], v[92:93] op_sel:[0,0,1] op_sel_hi:[0,1,0]
	v_mov_b32_e32 v83, v5
	v_mov_b32_e32 v25, v9
	v_pk_add_f32 v[108:109], v[90:91], v[86:87] neg_lo:[0,1] neg_hi:[0,1]
	v_pk_mul_f32 v[56:57], v[10:11], v[18:19] op_sel:[1,0]
	v_pk_fma_f32 v[60:61], v[10:11], v[12:13], v[52:53] op_sel:[0,0,1] op_sel_hi:[1,1,0] neg_lo:[0,0,1] neg_hi:[0,0,1]
	v_pk_fma_f32 v[10:11], v[10:11], v[12:13], v[52:53] op_sel:[0,0,1] op_sel_hi:[0,1,0]
	v_mov_b32_e32 v89, v3
	v_mov_b32_e32 v59, v23
	v_pk_add_f32 v[6:7], v[90:91], v[86:87]
	v_pk_add_f32 v[110:111], v[82:83], v[24:25] neg_lo:[0,1] neg_hi:[0,1]
	v_pk_mul_f32 v[8:9], v[108:109], s[28:29] op_sel:[1,0] op_sel_hi:[0,0]
	v_mov_b32_e32 v61, v11
	v_mov_b32_e32 v55, v21
	v_pk_add_f32 v[4:5], v[82:83], v[24:25]
	v_pk_add_f32 v[112:113], v[88:89], v[58:59] neg_lo:[0,1] neg_hi:[0,1]
	v_pk_mul_f32 v[10:11], v[110:111], s[36:37] op_sel:[1,0] op_sel_hi:[0,0]
	v_pk_mul_f32 v[20:21], v[108:109], s[24:25] op_sel:[1,0] op_sel_hi:[0,0]
	v_pk_fma_f32 v[100:101], v[6:7], s[4:5], v[8:9] op_sel_hi:[1,0,1]
	v_pk_fma_f32 v[102:103], v[6:7], s[4:5], v[8:9] op_sel_hi:[1,0,1] neg_lo:[0,0,1] neg_hi:[0,0,1]
	v_pk_add_f32 v[2:3], v[88:89], v[58:59]
	v_pk_mul_f32 v[22:23], v[110:111], s[38:39] op_sel:[1,0] op_sel_hi:[0,0]
	v_pk_mul_f32 v[34:35], v[112:113], s[26:27] op_sel:[1,0] op_sel_hi:[0,0]
	v_pk_fma_f32 v[96:97], v[4:5], s[8:9], v[10:11] op_sel_hi:[1,0,1]
	v_pk_fma_f32 v[98:99], v[4:5], s[8:9], v[10:11] op_sel_hi:[1,0,1] neg_lo:[0,0,1] neg_hi:[0,0,1]
	v_pk_fma_f32 v[114:115], v[6:7], s[22:23], v[20:21] op_sel_hi:[1,0,1]
	v_pk_fma_f32 v[20:21], v[6:7], s[22:23], v[20:21] op_sel_hi:[1,0,1] neg_lo:[0,0,1] neg_hi:[0,0,1]
	v_mov_b32_e32 v8, v100
	v_mov_b32_e32 v9, v103
	v_pk_fma_f32 v[84:85], v[42:43], v[18:19], v[56:57] op_sel:[0,0,1] op_sel_hi:[1,1,0] neg_lo:[0,0,1] neg_hi:[0,0,1]
	v_pk_fma_f32 v[42:43], v[42:43], v[18:19], v[56:57] op_sel:[0,0,1] op_sel_hi:[0,1,0]
	v_pk_fma_f32 v[116:117], v[4:5], s[20:21], v[22:23] op_sel_hi:[1,0,1]
	v_pk_fma_f32 v[22:23], v[4:5], s[20:21], v[22:23] op_sel_hi:[1,0,1] neg_lo:[0,0,1] neg_hi:[0,0,1]
	v_pk_fma_f32 v[104:105], v[2:3], s[20:21], v[34:35] op_sel_hi:[1,0,1]
	v_pk_fma_f32 v[106:107], v[2:3], s[20:21], v[34:35] op_sel_hi:[1,0,1] neg_lo:[0,0,1] neg_hi:[0,0,1]
	v_mov_b32_e32 v10, v96
	v_mov_b32_e32 v11, v99
	v_mov_b32_e32 v34, v114
	v_mov_b32_e32 v35, v21
	v_pk_add_f32 v[8:9], v[0:1], v[8:9]
	v_mov_b32_e32 v85, v43
	v_mov_b32_e32 v27, v49
	;; [unrolled: 1-line block ×6, first 2 shown]
	v_pk_add_f32 v[34:35], v[0:1], v[34:35]
	v_pk_add_f32 v[8:9], v[10:11], v[8:9]
	;; [unrolled: 1-line block ×4, first 2 shown]
	v_pk_mul_f32 v[8:9], v[112:113], s[28:29] op_sel:[1,0] op_sel_hi:[0,0]
	v_pk_fma_f32 v[34:35], v[2:3], s[4:5], v[8:9] op_sel_hi:[1,0,1]
	v_pk_fma_f32 v[48:49], v[2:3], s[4:5], v[8:9] op_sel_hi:[1,0,1] neg_lo:[0,0,1] neg_hi:[0,0,1]
	v_mov_b32_e32 v8, v34
	v_mov_b32_e32 v9, v49
	v_pk_add_f32 v[142:143], v[84:85], v[26:27] neg_lo:[0,1] neg_hi:[0,1]
	v_pk_add_f32 v[10:11], v[8:9], v[10:11]
	v_pk_add_f32 v[8:9], v[84:85], v[26:27]
	v_pk_mul_f32 v[50:51], v[142:143], s[24:25] op_sel:[1,0] op_sel_hi:[0,0]
	v_pk_fma_f32 v[118:119], v[8:9], s[22:23], v[50:51] op_sel_hi:[1,0,1]
	v_pk_fma_f32 v[120:121], v[8:9], s[22:23], v[50:51] op_sel_hi:[1,0,1] neg_lo:[0,0,1] neg_hi:[0,0,1]
	v_mov_b32_e32 v50, v118
	v_mov_b32_e32 v51, v121
	v_pk_add_f32 v[42:43], v[50:51], v[42:43]
	v_pk_mul_f32 v[50:51], v[142:143], s[34:35] op_sel:[1,0] op_sel_hi:[0,0]
	v_pk_fma_f32 v[92:93], v[8:9], s[30:31], v[50:51] op_sel_hi:[1,0,1]
	v_pk_fma_f32 v[94:95], v[8:9], s[30:31], v[50:51] op_sel_hi:[1,0,1] neg_lo:[0,0,1] neg_hi:[0,0,1]
	v_mov_b32_e32 v50, v92
	v_mov_b32_e32 v51, v95
	v_pk_add_f32 v[152:153], v[60:61], v[54:55] neg_lo:[0,1] neg_hi:[0,1]
	v_pk_add_f32 v[50:51], v[50:51], v[10:11]
	v_pk_add_f32 v[10:11], v[60:61], v[54:55]
	v_pk_mul_f32 v[52:53], v[152:153], s[34:35] op_sel:[1,0] op_sel_hi:[0,0]
	v_pk_fma_f32 v[122:123], v[10:11], s[30:31], v[52:53] op_sel_hi:[1,0,1]
	v_pk_fma_f32 v[124:125], v[10:11], s[30:31], v[52:53] op_sel_hi:[1,0,1] neg_lo:[0,0,1] neg_hi:[0,0,1]
	v_mov_b32_e32 v52, v122
	v_mov_b32_e32 v53, v125
	v_pk_add_f32 v[42:43], v[52:53], v[42:43]
	v_pk_mul_f32 v[52:53], v[108:109], s[36:37] op_sel:[1,0] op_sel_hi:[0,0]
	v_pk_fma_f32 v[126:127], v[6:7], s[8:9], v[52:53] op_sel_hi:[1,0,1]
	v_pk_fma_f32 v[128:129], v[6:7], s[8:9], v[52:53] op_sel_hi:[1,0,1] neg_lo:[0,0,1] neg_hi:[0,0,1]
	v_pk_mul_f32 v[56:57], v[110:111], s[24:25] op_sel:[1,0] op_sel_hi:[0,0]
	v_mov_b32_e32 v52, v126
	v_mov_b32_e32 v53, v129
	v_pk_fma_f32 v[130:131], v[4:5], s[22:23], v[56:57] op_sel_hi:[1,0,1]
	v_pk_fma_f32 v[132:133], v[4:5], s[22:23], v[56:57] op_sel_hi:[1,0,1] neg_lo:[0,0,1] neg_hi:[0,0,1]
	v_pk_add_f32 v[52:53], v[0:1], v[52:53]
	v_mov_b32_e32 v56, v130
	v_mov_b32_e32 v57, v133
	v_pk_add_f32 v[52:53], v[56:57], v[52:53]
	v_pk_mul_f32 v[56:57], v[112:113], s[40:41] op_sel:[1,0] op_sel_hi:[0,0]
	v_pk_fma_f32 v[134:135], v[2:3], s[30:31], v[56:57] op_sel_hi:[1,0,1]
	v_pk_fma_f32 v[136:137], v[2:3], s[30:31], v[56:57] op_sel_hi:[1,0,1] neg_lo:[0,0,1] neg_hi:[0,0,1]
	v_mov_b32_e32 v56, v134
	v_mov_b32_e32 v57, v137
	v_pk_add_f32 v[52:53], v[56:57], v[52:53]
	v_pk_mul_f32 v[56:57], v[142:143], s[38:39] op_sel:[1,0] op_sel_hi:[0,0]
	v_pk_fma_f32 v[138:139], v[8:9], s[20:21], v[56:57] op_sel_hi:[1,0,1]
	v_pk_fma_f32 v[140:141], v[8:9], s[20:21], v[56:57] op_sel_hi:[1,0,1] neg_lo:[0,0,1] neg_hi:[0,0,1]
	v_mov_b32_e32 v56, v138
	v_mov_b32_e32 v57, v141
	s_mov_b32 s36, 0x3f0a6770
	v_pk_add_f32 v[52:53], v[56:57], v[52:53]
	v_pk_mul_f32 v[56:57], v[152:153], s[36:37] op_sel:[1,0] op_sel_hi:[0,0]
	v_pk_fma_f32 v[144:145], v[10:11], s[4:5], v[56:57] op_sel_hi:[1,0,1]
	v_pk_fma_f32 v[146:147], v[10:11], s[4:5], v[56:57] op_sel_hi:[1,0,1] neg_lo:[0,0,1] neg_hi:[0,0,1]
	v_mov_b32_e32 v56, v144
	v_mov_b32_e32 v57, v147
	v_pk_add_f32 v[52:53], v[56:57], v[52:53]
	v_pk_mul_f32 v[56:57], v[108:109], s[26:27] op_sel:[1,0] op_sel_hi:[0,0]
	v_pk_fma_f32 v[148:149], v[6:7], s[20:21], v[56:57] op_sel_hi:[1,0,1]
	v_pk_fma_f32 v[150:151], v[6:7], s[20:21], v[56:57] op_sel_hi:[1,0,1] neg_lo:[0,0,1] neg_hi:[0,0,1]
	v_pk_mul_f32 v[156:157], v[110:111], s[40:41] op_sel:[1,0] op_sel_hi:[0,0]
	v_mov_b32_e32 v56, v148
	v_mov_b32_e32 v57, v151
	v_pk_fma_f32 v[154:155], v[4:5], s[30:31], v[156:157] op_sel_hi:[1,0,1]
	v_pk_fma_f32 v[156:157], v[4:5], s[30:31], v[156:157] op_sel_hi:[1,0,1] neg_lo:[0,0,1] neg_hi:[0,0,1]
	s_mov_b32 s38, 0x3f68dda4
	v_pk_add_f32 v[56:57], v[0:1], v[56:57]
	v_mov_b32_e32 v158, v154
	v_mov_b32_e32 v159, v157
	v_pk_mul_f32 v[160:161], v[112:113], s[38:39] op_sel:[1,0] op_sel_hi:[0,0]
	v_pk_add_f32 v[56:57], v[158:159], v[56:57]
	v_pk_fma_f32 v[158:159], v[2:3], s[8:9], v[160:161] op_sel_hi:[1,0,1]
	v_pk_fma_f32 v[164:165], v[2:3], s[8:9], v[160:161] op_sel_hi:[1,0,1] neg_lo:[0,0,1] neg_hi:[0,0,1]
	v_mov_b32_e32 v160, v158
	v_mov_b32_e32 v161, v165
	v_pk_add_f32 v[56:57], v[160:161], v[56:57]
	v_pk_mul_f32 v[160:161], v[142:143], s[28:29] op_sel:[1,0] op_sel_hi:[0,0]
	v_pk_fma_f32 v[166:167], v[8:9], s[4:5], v[160:161] op_sel_hi:[1,0,1]
	v_pk_fma_f32 v[168:169], v[8:9], s[4:5], v[160:161] op_sel_hi:[1,0,1] neg_lo:[0,0,1] neg_hi:[0,0,1]
	v_mov_b32_e32 v160, v166
	v_mov_b32_e32 v161, v169
	v_pk_add_f32 v[56:57], v[160:161], v[56:57]
	v_pk_mul_f32 v[160:161], v[152:153], s[24:25] op_sel:[1,0] op_sel_hi:[0,0]
	v_pk_fma_f32 v[170:171], v[10:11], s[22:23], v[160:161] op_sel_hi:[1,0,1]
	v_pk_fma_f32 v[172:173], v[10:11], s[22:23], v[160:161] op_sel_hi:[1,0,1] neg_lo:[0,0,1] neg_hi:[0,0,1]
	v_mov_b32_e32 v160, v170
	v_mov_b32_e32 v161, v173
	v_pk_mul_f32 v[162:163], v[152:153], s[38:39] op_sel:[1,0] op_sel_hi:[0,0]
	v_pk_add_f32 v[56:57], v[160:161], v[56:57]
	v_pk_fma_f32 v[160:161], v[10:11], s[8:9], v[162:163] op_sel_hi:[1,0,1]
	v_pk_fma_f32 v[162:163], v[10:11], s[8:9], v[162:163] op_sel_hi:[1,0,1] neg_lo:[0,0,1] neg_hi:[0,0,1]
	v_mov_b32_e32 v176, v160
	v_mov_b32_e32 v177, v163
	v_pk_add_f32 v[50:51], v[176:177], v[50:51]
	s_and_saveexec_b64 s[28:29], s[2:3]
	s_cbranch_execz .LBB0_11
; %bb.10:
	v_pk_add_f32 v[90:91], v[0:1], v[90:91]
	v_mov_b32_e32 v103, v101
	v_pk_add_f32 v[82:83], v[90:91], v[82:83]
	v_mov_b32_e32 v99, v97
	;; [unrolled: 2-line block ×5, first 2 shown]
	v_pk_add_f32 v[54:55], v[60:61], v[54:55]
	v_add_lshl_u32 v33, v216, v63, 3
	v_pk_add_f32 v[26:27], v[54:55], v[26:27]
	v_mov_b32_e32 v129, v127
	v_pk_add_f32 v[26:27], v[26:27], v[58:59]
	v_mov_b32_e32 v151, v149
	v_pk_add_f32 v[24:25], v[26:27], v[24:25]
	v_pk_add_f32 v[26:27], v[0:1], v[102:103]
	;; [unrolled: 1-line block ×4, first 2 shown]
	v_mov_b32_e32 v133, v131
	v_pk_add_f32 v[26:27], v[106:107], v[26:27]
	v_mov_b32_e32 v157, v155
	v_pk_add_f32 v[26:27], v[120:121], v[26:27]
	;; [unrolled: 2-line block ×3, first 2 shown]
	ds_write2_b64 v33, v[24:25], v[26:27] offset1:3
	v_pk_add_f32 v[24:25], v[0:1], v[128:129]
	v_pk_add_f32 v[26:27], v[0:1], v[150:151]
	;; [unrolled: 1-line block ×4, first 2 shown]
	v_mov_b32_e32 v165, v159
	v_mov_b32_e32 v21, v115
	v_pk_add_f32 v[24:25], v[136:137], v[24:25]
	v_mov_b32_e32 v141, v139
	v_pk_add_f32 v[26:27], v[164:165], v[26:27]
	v_mov_b32_e32 v169, v167
	v_mov_b32_e32 v176, v143
	;; [unrolled: 1-line block ×8, first 2 shown]
	v_pk_add_f32 v[24:25], v[140:141], v[24:25]
	v_mov_b32_e32 v147, v145
	v_pk_add_f32 v[26:27], v[168:169], v[26:27]
	v_mov_b32_e32 v173, v171
	;; [unrolled: 2-line block ×3, first 2 shown]
	v_mov_b32_e32 v109, v110
	v_pk_add_f32 v[24:25], v[146:147], v[24:25]
	v_pk_add_f32 v[26:27], v[172:173], v[26:27]
	;; [unrolled: 1-line block ×3, first 2 shown]
	v_pk_mul_f32 v[22:23], v[152:153], s[34:35] op_sel_hi:[1,0]
	ds_write2_b64 v33, v[24:25], v[26:27] offset0:6 offset1:9
	v_pk_mul_f32 v[24:25], v[108:109], s[36:37] op_sel_hi:[1,0]
	v_pk_fma_f32 v[54:55], v[6:7], s[30:31], v[22:23] op_sel_hi:[1,0,1] neg_lo:[0,0,1] neg_hi:[0,0,1]
	v_pk_fma_f32 v[6:7], v[6:7], s[30:31], v[22:23] op_sel_hi:[1,0,1]
	v_mov_b32_e32 v110, v113
	v_mov_b32_e32 v111, v112
	;; [unrolled: 1-line block ×4, first 2 shown]
	v_pk_fma_f32 v[58:59], v[4:5], s[4:5], v[24:25] op_sel_hi:[1,0,1] neg_lo:[0,0,1] neg_hi:[0,0,1]
	v_pk_fma_f32 v[4:5], v[4:5], s[4:5], v[24:25] op_sel_hi:[1,0,1]
	v_pk_mul_f32 v[26:27], v[110:111], s[24:25] op_sel_hi:[1,0]
	v_pk_add_f32 v[22:23], v[0:1], v[22:23]
	v_mov_b32_e32 v24, v58
	v_mov_b32_e32 v25, v5
	v_pk_add_f32 v[22:23], v[24:25], v[22:23]
	v_pk_fma_f32 v[24:25], v[2:3], s[22:23], v[26:27] op_sel_hi:[1,0,1] neg_lo:[0,0,1] neg_hi:[0,0,1]
	v_pk_fma_f32 v[2:3], v[2:3], s[22:23], v[26:27] op_sel_hi:[1,0,1]
	v_mov_b32_e32 v49, v35
	v_pk_mul_f32 v[34:35], v[176:177], s[38:39] op_sel_hi:[1,0]
	v_mov_b32_e32 v26, v24
	v_mov_b32_e32 v27, v3
	;; [unrolled: 1-line block ×3, first 2 shown]
	v_pk_add_f32 v[22:23], v[26:27], v[22:23]
	v_pk_fma_f32 v[26:27], v[8:9], s[8:9], v[34:35] op_sel_hi:[1,0,1] neg_lo:[0,0,1] neg_hi:[0,0,1]
	v_pk_fma_f32 v[8:9], v[8:9], s[8:9], v[34:35] op_sel_hi:[1,0,1]
	v_pk_add_f32 v[0:1], v[0:1], v[6:7]
	v_mov_b32_e32 v5, v59
	v_pk_add_f32 v[20:21], v[48:49], v[20:21]
	v_pk_mul_f32 v[48:49], v[142:143], s[26:27] op_sel_hi:[1,0]
	v_mov_b32_e32 v34, v26
	v_mov_b32_e32 v35, v9
	v_pk_add_f32 v[0:1], v[4:5], v[0:1]
	v_mov_b32_e32 v3, v25
	v_mov_b32_e32 v95, v93
	v_pk_add_f32 v[22:23], v[34:35], v[22:23]
	v_pk_fma_f32 v[34:35], v[10:11], s[20:21], v[48:49] op_sel_hi:[1,0,1] neg_lo:[0,0,1] neg_hi:[0,0,1]
	v_pk_fma_f32 v[10:11], v[10:11], s[20:21], v[48:49] op_sel_hi:[1,0,1]
	v_pk_add_f32 v[0:1], v[2:3], v[0:1]
	v_mov_b32_e32 v9, v27
	v_pk_add_f32 v[20:21], v[94:95], v[20:21]
	v_mov_b32_e32 v163, v161
	v_mov_b32_e32 v48, v34
	;; [unrolled: 1-line block ×3, first 2 shown]
	v_pk_add_f32 v[0:1], v[8:9], v[0:1]
	v_mov_b32_e32 v11, v35
	v_pk_add_f32 v[20:21], v[162:163], v[20:21]
	v_pk_add_f32 v[22:23], v[48:49], v[22:23]
	;; [unrolled: 1-line block ×3, first 2 shown]
	ds_write2_b64 v33, v[20:21], v[22:23] offset0:12 offset1:15
	ds_write2_b64 v33, v[0:1], v[50:51] offset0:18 offset1:21
	;; [unrolled: 1-line block ×3, first 2 shown]
	ds_write_b64 v33, v[42:43] offset:240
.LBB0_11:
	s_or_b64 exec, exec, s[28:29]
	s_waitcnt lgkmcnt(0)
	s_barrier
	ds_read_b64 v[54:55], v62
	ds_read_b64 v[60:61], v62 offset:6336
	ds_read_b64 v[86:87], v62 offset:4224
	;; [unrolled: 1-line block ×6, first 2 shown]
	v_cmp_lt_u16_e64 s[8:9], 32, v66
	v_cmp_gt_u16_e64 s[4:5], 33, v66
                                        ; implicit-def: $vgpr84
                                        ; implicit-def: $vgpr96
                                        ; implicit-def: $vgpr92
                                        ; implicit-def: $vgpr98
                                        ; implicit-def: $vgpr94
                                        ; implicit-def: $vgpr100
	s_and_saveexec_b64 s[20:21], s[4:5]
	s_cbranch_execz .LBB0_13
; %bb.12:
	ds_read_b64 v[94:95], v62 offset:10296
	ds_read_b64 v[84:85], v62 offset:12408
	;; [unrolled: 1-line block ×7, first 2 shown]
	s_waitcnt lgkmcnt(5)
	v_mov_b32_e32 v96, v85
	s_waitcnt lgkmcnt(4)
	v_mov_b32_e32 v98, v93
	v_mov_b32_e32 v100, v95
.LBB0_13:
	s_or_b64 exec, exec, s[20:21]
	s_movk_i32 s20, 0xf9
	v_mul_lo_u16_sdwa v0, v66, s20 dst_sel:DWORD dst_unused:UNUSED_PAD src0_sel:BYTE_0 src1_sel:DWORD
	v_lshrrev_b16_e32 v41, 13, v0
	v_mul_lo_u16_e32 v0, 33, v41
	v_sub_u16_e32 v0, v66, v0
	v_and_b32_e32 v108, 0xff, v0
	v_mad_u64_u32 v[102:103], s[20:21], v108, 48, s[0:1]
	s_mov_b32 s20, 0xf83f
	s_nop 0
	v_mul_u32_u24_sdwa v0, v32, s20 dst_sel:DWORD dst_unused:UNUSED_PAD src0_sel:WORD_0 src1_sel:DWORD
	v_lshrrev_b32_e32 v0, 21, v0
	v_mul_lo_u16_e32 v0, 33, v0
	v_sub_u16_e32 v118, v32, v0
	v_mul_lo_u16_e32 v48, 48, v118
	v_mov_b32_e32 v49, 0
	global_load_dwordx4 v[24:27], v[102:103], off offset:256
	global_load_dwordx4 v[20:23], v[102:103], off offset:240
	v_lshl_add_u64 v[104:105], s[0:1], 0, v[48:49]
	global_load_dwordx4 v[32:35], v[102:103], off offset:272
	global_load_dwordx4 v[4:7], v[104:105], off offset:240
	global_load_dwordx4 v[0:3], v[104:105], off offset:256
	global_load_dwordx4 v[8:11], v[104:105], off offset:272
	s_mov_b32 s28, 0x3f4a47b2
	s_mov_b32 s30, 0x3eae86e6
	;; [unrolled: 1-line block ×8, first 2 shown]
	v_mul_u32_u24_e32 v41, 0xe7, v41
	v_add_lshl_u32 v215, v41, v108, 3
	s_waitcnt lgkmcnt(0)
	s_barrier
	v_lshlrev_b32_e32 v214, 3, v118
	s_waitcnt vmcnt(5)
	v_mul_f32_e32 v93, v89, v26
	s_waitcnt vmcnt(3)
	v_mul_f32_e32 v85, v83, v33
	s_waitcnt vmcnt(2)
	v_pk_mul_f32 v[102:103], v[56:57], v[4:5] op_sel:[1,0]
	v_pk_mul_f32 v[110:111], v[52:53], v[6:7] op_sel:[1,0]
	s_waitcnt vmcnt(1)
	v_pk_mul_f32 v[112:113], v[42:43], v[0:1] op_sel:[1,0]
	v_pk_mul_f32 v[100:101], v[100:101], v[2:3] op_sel_hi:[0,1]
	s_waitcnt vmcnt(0)
	v_pk_mul_f32 v[96:97], v[96:97], v[8:9] op_sel_hi:[0,1]
	v_pk_mul_f32 v[98:99], v[98:99], v[10:11] op_sel_hi:[0,1]
	v_fma_f32 v106, v82, v32, -v85
	v_pk_fma_f32 v[114:115], v[56:57], v[4:5], v[102:103] op_sel:[0,0,1] op_sel_hi:[1,1,0] neg_lo:[0,0,1] neg_hi:[0,0,1]
	v_pk_fma_f32 v[56:57], v[56:57], v[4:5], v[102:103] op_sel:[0,0,1] op_sel_hi:[0,1,0]
	v_pk_fma_f32 v[102:103], v[52:53], v[6:7], v[110:111] op_sel:[0,0,1] op_sel_hi:[1,1,0] neg_lo:[0,0,1] neg_hi:[0,0,1]
	v_pk_fma_f32 v[52:53], v[52:53], v[6:7], v[110:111] op_sel:[0,0,1] op_sel_hi:[0,1,0]
	;; [unrolled: 2-line block ×6, first 2 shown]
	v_mov_b32_e32 v115, v57
	v_mov_b32_e32 v103, v53
	;; [unrolled: 1-line block ×6, first 2 shown]
	v_pk_add_f32 v[42:43], v[114:115], v[96:97]
	v_pk_add_f32 v[56:57], v[102:103], v[100:101]
	v_pk_add_f32 v[52:53], v[114:115], v[96:97] neg_lo:[0,1] neg_hi:[0,1]
	v_pk_add_f32 v[94:95], v[110:111], v[112:113]
	v_pk_add_f32 v[96:97], v[112:113], v[110:111] neg_lo:[0,1] neg_hi:[0,1]
	;; [unrolled: 2-line block ×3, first 2 shown]
	v_pk_add_f32 v[100:101], v[56:57], v[42:43] neg_lo:[0,1] neg_hi:[0,1]
	v_pk_add_f32 v[42:43], v[42:43], v[94:95] neg_lo:[0,1] neg_hi:[0,1]
	v_pk_add_f32 v[110:111], v[52:53], v[96:97] op_sel:[1,1] op_sel_hi:[0,0] neg_lo:[0,1] neg_hi:[0,1]
	v_mov_b32_e32 v115, v95
	v_mov_b32_e32 v114, v98
	;; [unrolled: 1-line block ×3, first 2 shown]
	v_pk_add_f32 v[102:103], v[96:97], v[84:85] op_sel:[1,1] op_sel_hi:[0,0]
	v_pk_add_f32 v[112:113], v[84:85], v[52:53] op_sel:[1,1] op_sel_hi:[0,0] neg_lo:[0,1] neg_hi:[0,1]
	v_pk_add_f32 v[56:57], v[94:95], v[56:57] neg_lo:[0,1] neg_hi:[0,1]
	v_pk_add_f32 v[84:85], v[96:97], v[84:85] op_sel:[1,1] op_sel_hi:[0,0] neg_lo:[0,1] neg_hi:[0,1]
	v_pk_mul_f32 v[42:43], v[42:43], s[28:29] op_sel_hi:[1,0]
	v_pk_mul_f32 v[94:95], v[110:111], s[30:31] op_sel_hi:[1,0]
	v_pk_add_f32 v[98:99], v[114:115], v[98:99]
	v_pk_add_f32 v[52:53], v[102:103], v[52:53] op_sel:[0,1] op_sel_hi:[1,0]
	v_pk_mul_f32 v[96:97], v[112:113], s[24:25] op_sel_hi:[1,0]
	v_pk_mul_f32 v[102:103], v[56:57], s[34:35] op_sel_hi:[1,0]
	;; [unrolled: 1-line block ×3, first 2 shown]
	v_pk_fma_f32 v[114:115], v[100:101], s[22:23], v[42:43] op_sel_hi:[1,0,1] neg_lo:[1,0,1] neg_hi:[1,0,1]
	v_pk_fma_f32 v[56:57], v[56:57], s[34:35], v[42:43] op_sel_hi:[1,0,1]
	v_pk_fma_f32 v[84:85], v[84:85], s[36:37], v[94:95] op_sel_hi:[1,0,1]
	v_pk_add_f32 v[42:43], v[50:51], v[98:99]
	v_pk_fma_f32 v[96:97], v[110:111], s[30:31], v[96:97] op_sel_hi:[1,0,1] neg_lo:[1,0,1] neg_hi:[1,0,1]
	v_pk_fma_f32 v[94:95], v[100:101], s[22:23], v[102:103] op_sel_hi:[1,0,1] neg_lo:[0,0,1] neg_hi:[0,0,1]
	;; [unrolled: 1-line block ×3, first 2 shown]
	v_pk_fma_f32 v[50:51], v[52:53], s[20:21], v[84:85] op_sel_hi:[1,0,1]
	v_pk_fma_f32 v[84:85], v[98:99], s[26:27], v[42:43] op_sel_hi:[1,0,1] neg_lo:[1,0,0] neg_hi:[1,0,0]
	v_pk_fma_f32 v[112:113], v[52:53], s[20:21], v[100:101] op_sel_hi:[1,0,1]
	v_pk_add_f32 v[110:111], v[114:115], v[84:85]
	v_pk_add_f32 v[56:57], v[56:57], v[84:85]
	;; [unrolled: 1-line block ×3, first 2 shown]
	v_pk_fma_f32 v[52:53], v[52:53], s[20:21], v[96:97] op_sel_hi:[1,0,1]
	v_pk_add_f32 v[94:95], v[56:57], v[50:51]
	v_pk_add_f32 v[50:51], v[56:57], v[50:51] neg_lo:[0,1] neg_hi:[0,1]
	v_mov_b32_e32 v56, v84
	v_mov_b32_e32 v57, v111
	;; [unrolled: 1-line block ×4, first 2 shown]
	v_pk_add_f32 v[98:99], v[56:57], v[96:97] neg_lo:[0,1] neg_hi:[0,1]
	v_mov_b32_e32 v56, v113
	v_mov_b32_e32 v57, v52
	;; [unrolled: 1-line block ×4, first 2 shown]
	v_pk_add_f32 v[100:101], v[56:57], v[96:97]
	v_pk_add_f32 v[96:97], v[84:85], v[112:113]
	v_pk_add_f32 v[56:57], v[84:85], v[112:113] neg_lo:[0,1] neg_hi:[0,1]
	v_pk_add_f32 v[84:85], v[110:111], v[52:53] neg_lo:[0,1] neg_hi:[0,1]
	v_pk_add_f32 v[52:53], v[110:111], v[52:53]
	v_mul_f32_e32 v109, v88, v27
	v_mov_b32_e32 v85, v53
	v_pk_mul_f32 v[52:53], v[90:91], v[20:21] op_sel_hi:[1,0]
	v_mul_f32_e32 v48, v87, v23
	v_mov_b32_e32 v97, v57
	v_pk_fma_f32 v[56:57], v[90:91], v[20:21], v[52:53] op_sel:[0,1,1] op_sel_hi:[1,1,0]
	v_pk_fma_f32 v[52:53], v[90:91], v[20:21], v[52:53] op_sel:[0,1,1] op_sel_hi:[1,1,0] neg_lo:[1,0,0] neg_hi:[1,0,0]
	v_mov_b32_e32 v90, v87
	v_mov_b32_e32 v91, v88
	v_mov_b32_e32 v87, v89
	v_mov_b32_e32 v88, v23
	v_mov_b32_e32 v89, v27
	v_fma_f32 v104, v86, v22, -v48
	v_mov_b32_e32 v110, v22
	v_mov_b32_e32 v111, v26
	v_pk_mul_f32 v[86:87], v[86:87], v[88:89]
	v_mul_f32_e32 v105, v61, v24
	v_mul_f32_e32 v107, v60, v25
	v_pk_fma_f32 v[88:89], v[90:91], v[22:23], v[86:87]
	v_pk_fma_f32 v[86:87], v[90:91], v[110:111], v[86:87] neg_lo:[0,0,1] neg_hi:[0,0,1]
	v_mov_b32_e32 v90, v83
	v_mov_b32_e32 v91, v60
	;; [unrolled: 1-line block ×7, first 2 shown]
	v_pk_mul_f32 v[60:61], v[82:83], v[60:61]
	v_mov_b32_e32 v48, v35
	v_pk_fma_f32 v[82:83], v[90:91], v[32:33], v[60:61]
	v_pk_fma_f32 v[60:61], v[90:91], v[110:111], v[60:61] neg_lo:[0,0,1] neg_hi:[0,0,1]
	v_pk_mul_f32 v[90:91], v[58:59], v[34:35] op_sel_hi:[1,0]
	v_mov_b32_e32 v57, v53
	v_pk_fma_f32 v[110:111], v[58:59], v[48:49], v[90:91] op_sel:[0,0,1] op_sel_hi:[1,0,0]
	v_pk_fma_f32 v[58:59], v[58:59], v[48:49], v[90:91] op_sel:[0,0,1] op_sel_hi:[1,0,0] neg_lo:[1,0,0] neg_hi:[1,0,0]
	v_mov_b32_e32 v89, v87
	v_mov_b32_e32 v83, v61
	v_mov_b32_e32 v111, v59
	v_mov_b32_e32 v92, v53
	v_mov_b32_e32 v108, v59
	v_mov_b32_e32 v102, v94
	v_mov_b32_e32 v103, v51
	v_mov_b32_e32 v94, v50
	v_pk_add_f32 v[50:51], v[104:105], v[106:107]
	v_pk_add_f32 v[90:91], v[56:57], v[110:111]
	v_pk_add_f32 v[56:57], v[56:57], v[110:111] neg_lo:[0,1] neg_hi:[0,1]
	v_pk_add_f32 v[110:111], v[88:89], v[82:83]
	v_pk_add_f32 v[52:53], v[92:93], v[108:109]
	v_pk_add_f32 v[82:83], v[88:89], v[82:83] neg_lo:[0,1] neg_hi:[0,1]
	v_mov_b32_e32 v58, v53
	v_mov_b32_e32 v59, v104
	;; [unrolled: 1-line block ×8, first 2 shown]
	v_pk_add_f32 v[58:59], v[58:59], v[88:89] neg_lo:[0,1] neg_hi:[0,1]
	v_pk_add_f32 v[108:109], v[50:51], v[52:53]
	v_pk_add_f32 v[60:61], v[60:61], v[86:87]
	v_mov_b32_e32 v104, v58
	v_mov_b32_e32 v105, v57
	;; [unrolled: 1-line block ×6, first 2 shown]
	v_pk_add_f32 v[104:105], v[104:105], v[82:83] neg_lo:[0,1] neg_hi:[0,1]
	s_mov_b32 s37, s30
	v_pk_add_f32 v[86:87], v[86:87], v[50:51] neg_lo:[0,1] neg_hi:[0,1]
	v_mov_b32_e32 v53, v109
	v_mov_b32_e32 v112, v60
	;; [unrolled: 1-line block ×3, first 2 shown]
	v_pk_add_f32 v[60:61], v[108:109], v[60:61]
	s_mov_b32 s35, s28
	v_pk_add_f32 v[88:89], v[88:89], v[58:59] neg_lo:[0,1] neg_hi:[0,1]
	s_mov_b32 s31, s36
	v_pk_mul_f32 v[104:105], v[104:105], s[36:37]
	v_pk_add_f32 v[106:107], v[82:83], v[58:59]
	v_pk_add_f32 v[112:113], v[52:53], v[112:113] neg_lo:[0,1] neg_hi:[0,1]
	v_pk_add_f32 v[54:55], v[54:55], v[60:61]
	v_pk_mul_f32 v[86:87], v[86:87], s[34:35]
	s_mov_b32 s29, s34
	v_pk_mul_f32 v[92:93], v[88:89], s[30:31]
	v_pk_add_f32 v[106:107], v[106:107], v[56:57]
	v_pk_mul_f32 v[108:109], v[112:113], s[28:29]
	v_pk_fma_f32 v[60:61], v[60:61], s[26:27], v[54:55] op_sel_hi:[1,0,1] neg_lo:[1,0,0] neg_hi:[1,0,0]
	v_pk_fma_f32 v[112:113], v[112:113], s[28:29], v[86:87]
	v_pk_fma_f32 v[88:89], v[88:89], s[30:31], v[104:105]
	v_pk_add_f32 v[112:113], v[112:113], v[60:61]
	v_pk_fma_f32 v[88:89], v[106:107], s[20:21], v[88:89] op_sel_hi:[1,0,1]
	v_mov_b32_e32 v83, v59
	v_pk_add_f32 v[114:115], v[112:113], v[88:89]
	v_pk_add_f32 v[88:89], v[112:113], v[88:89] neg_lo:[0,1] neg_hi:[0,1]
	v_mov_b32_e32 v112, v114
	v_mov_b32_e32 v113, v89
	;; [unrolled: 1-line block ×4, first 2 shown]
	ds_write2_b64 v215, v[54:55], v[112:113] offset1:33
	v_pk_add_f32 v[54:55], v[82:83], v[56:57] neg_lo:[0,1] neg_hi:[0,1]
	v_pk_add_f32 v[50:51], v[50:51], v[52:53] neg_lo:[0,1] neg_hi:[0,1]
	v_mov_b32_e32 v52, v108
	v_mov_b32_e32 v53, v87
	;; [unrolled: 1-line block ×6, first 2 shown]
	v_pk_fma_f32 v[52:53], v[50:51], s[22:23], v[52:53] op_sel_hi:[1,0,1] neg_lo:[1,0,1] neg_hi:[1,0,1]
	v_pk_fma_f32 v[56:57], v[54:55], s[24:25], v[56:57] op_sel_hi:[1,0,1] neg_lo:[1,0,1] neg_hi:[1,0,1]
	v_pk_fma_f32 v[50:51], v[50:51], s[22:23], v[86:87] op_sel_hi:[1,0,1] neg_lo:[0,0,1] neg_hi:[0,0,1]
	v_pk_fma_f32 v[54:55], v[54:55], s[24:25], v[104:105] op_sel_hi:[1,0,1] neg_lo:[0,0,1] neg_hi:[0,0,1]
	v_pk_add_f32 v[52:53], v[52:53], v[60:61]
	v_pk_fma_f32 v[56:57], v[106:107], s[20:21], v[56:57] op_sel_hi:[1,0,1]
	v_pk_add_f32 v[50:51], v[50:51], v[60:61]
	v_pk_fma_f32 v[54:55], v[106:107], s[20:21], v[54:55] op_sel_hi:[1,0,1]
	v_pk_add_f32 v[58:59], v[52:53], v[56:57]
	v_pk_add_f32 v[52:53], v[52:53], v[56:57] neg_lo:[0,1] neg_hi:[0,1]
	v_pk_add_f32 v[60:61], v[50:51], v[54:55] neg_lo:[0,1] neg_hi:[0,1]
	v_pk_add_f32 v[50:51], v[50:51], v[54:55]
	v_mov_b32_e32 v56, v58
	v_mov_b32_e32 v57, v53
	;; [unrolled: 1-line block ×7, first 2 shown]
	ds_write2_b64 v215, v[56:57], v[54:55] offset0:66 offset1:99
	ds_write2_b64 v215, v[50:51], v[52:53] offset0:132 offset1:165
	ds_write_b64 v215, v[88:89] offset:1584
	s_and_saveexec_b64 s[20:21], s[4:5]
	s_cbranch_execz .LBB0_15
; %bb.14:
	v_add_u32_e32 v41, 0x3000, v214
	ds_write2_b64 v41, v[42:43], v[102:103] offset0:81 offset1:114
	v_mov_b32_e32 v42, v101
	v_mov_b32_e32 v43, v99
	;; [unrolled: 1-line block ×4, first 2 shown]
	ds_write2_b64 v41, v[42:43], v[50:51] offset0:147 offset1:180
	ds_write2_b64 v41, v[96:97], v[84:85] offset0:213 offset1:246
	ds_write_b64 v214, v[94:95] offset:14520
.LBB0_15:
	s_or_b64 exec, exec, s[20:21]
	v_lshlrev_b32_e32 v48, 3, v66
	v_lshl_add_u64 v[50:51], s[18:19], 0, v[48:49]
	v_lshlrev_b32_e32 v48, 3, v40
	s_waitcnt lgkmcnt(0)
	s_barrier
	global_load_dwordx4 v[40:43], v48, s[0:1] offset:1824
	global_load_dwordx2 v[82:83], v48, s[0:1] offset:1840
	v_add_u32_e32 v128, 0xe00, v62
	ds_read2_b64 v[52:55], v62 offset1:231
	v_add_u32_e32 v129, 0x1c80, v62
	v_add_u32_e32 v130, 0x2b00, v62
	ds_read2_b64 v[56:59], v128 offset0:14 offset1:245
	ds_read2_b64 v[86:89], v129 offset0:12 offset1:243
	;; [unrolled: 1-line block ×3, first 2 shown]
	v_lshlrev_b32_e32 v60, 4, v66
	v_lshl_add_u64 v[48:49], s[0:1], 0, v[48:49]
	v_sub_co_u32_e32 v118, vcc, v48, v60
	s_movk_i32 s18, 0x2000
	s_nop 0
	v_subbrev_co_u32_e32 v119, vcc, 0, v49, vcc
	v_add_co_u32_e32 v48, vcc, s18, v118
	s_movk_i32 s20, 0x3000
	s_nop 0
	v_addc_co_u32_e32 v49, vcc, 0, v119, vcc
	v_add_co_u32_e32 v60, vcc, s20, v118
	s_movk_i32 s19, 0x1000
	s_nop 0
	v_addc_co_u32_e32 v61, vcc, 0, v119, vcc
	s_waitcnt lgkmcnt(0)
	s_barrier
	s_movk_i32 s21, 0x6000
	s_mov_b64 s[0:1], 0x39c0
	s_waitcnt vmcnt(1)
	v_mov_b32_e32 v104, v43
	v_pk_mul_f32 v[106:107], v[56:57], v[40:41] op_sel:[0,1]
	s_waitcnt vmcnt(0)
	v_pk_mul_f32 v[108:109], v[90:91], v[82:83] op_sel:[0,1]
	v_pk_mul_f32 v[110:111], v[58:59], v[40:41] op_sel_hi:[1,0]
	v_pk_mul_f32 v[112:113], v[92:93], v[82:83] op_sel_hi:[1,0]
	;; [unrolled: 1-line block ×3, first 2 shown]
	v_pk_fma_f32 v[116:117], v[56:57], v[40:41], v[106:107] op_sel:[0,0,1] op_sel_hi:[1,1,0] neg_lo:[0,0,1] neg_hi:[0,0,1]
	v_pk_fma_f32 v[56:57], v[56:57], v[40:41], v[106:107] op_sel:[0,0,1] op_sel_hi:[1,0,0]
	v_pk_fma_f32 v[106:107], v[90:91], v[82:83], v[108:109] op_sel:[0,0,1] op_sel_hi:[1,1,0] neg_lo:[0,0,1] neg_hi:[0,0,1]
	v_pk_fma_f32 v[90:91], v[90:91], v[82:83], v[108:109] op_sel:[0,0,1] op_sel_hi:[1,0,0]
	v_pk_fma_f32 v[108:109], v[58:59], v[40:41], v[110:111] op_sel:[0,1,1] op_sel_hi:[1,1,0]
	v_pk_fma_f32 v[58:59], v[58:59], v[40:41], v[110:111] op_sel:[0,1,1] op_sel_hi:[1,1,0] neg_lo:[1,0,0] neg_hi:[1,0,0]
	v_pk_mul_f32 v[104:105], v[88:89], v[104:105] op_sel_hi:[1,0]
	v_pk_fma_f32 v[110:111], v[92:93], v[82:83], v[112:113] op_sel:[0,1,1] op_sel_hi:[1,1,0]
	v_pk_fma_f32 v[92:93], v[92:93], v[82:83], v[112:113] op_sel:[0,1,1] op_sel_hi:[1,1,0] neg_lo:[1,0,0] neg_hi:[1,0,0]
	v_pk_fma_f32 v[112:113], v[86:87], v[42:43], v[114:115] op_sel:[0,0,1] op_sel_hi:[1,1,0] neg_lo:[0,0,1] neg_hi:[0,0,1]
	v_pk_fma_f32 v[86:87], v[86:87], v[42:43], v[114:115] op_sel:[0,0,1] op_sel_hi:[1,0,0]
	v_mov_b32_e32 v117, v57
	v_mov_b32_e32 v107, v91
	;; [unrolled: 1-line block ×3, first 2 shown]
	v_pk_fma_f32 v[56:57], v[88:89], v[42:43], v[104:105] op_sel:[0,0,1] op_sel_hi:[1,1,0] neg_lo:[0,0,1] neg_hi:[0,0,1]
	v_pk_fma_f32 v[58:59], v[88:89], v[42:43], v[104:105] op_sel:[0,0,1] op_sel_hi:[1,0,0]
	v_mov_b32_e32 v113, v87
	v_mov_b32_e32 v111, v93
	v_pk_add_f32 v[86:87], v[116:117], v[106:107] neg_lo:[0,1] neg_hi:[0,1]
	v_mov_b32_e32 v57, v59
	v_pk_add_f32 v[88:89], v[52:53], v[112:113] neg_lo:[0,1] neg_hi:[0,1]
	v_pk_add_f32 v[58:59], v[108:109], v[110:111] neg_lo:[0,1] neg_hi:[0,1]
	v_pk_fma_f32 v[90:91], v[116:117], 2.0, v[86:87] op_sel_hi:[1,0,1] neg_lo:[0,0,1] neg_hi:[0,0,1]
	v_pk_add_f32 v[56:57], v[54:55], v[56:57] neg_lo:[0,1] neg_hi:[0,1]
	v_pk_fma_f32 v[52:53], v[52:53], 2.0, v[88:89] op_sel_hi:[1,0,1] neg_lo:[0,0,1] neg_hi:[0,0,1]
	v_pk_add_f32 v[104:105], v[88:89], v[86:87] op_sel:[0,1] op_sel_hi:[1,0] neg_lo:[0,1] neg_hi:[0,1]
	v_pk_add_f32 v[86:87], v[88:89], v[86:87] op_sel:[0,1] op_sel_hi:[1,0]
	v_pk_fma_f32 v[92:93], v[108:109], 2.0, v[58:59] op_sel_hi:[1,0,1] neg_lo:[0,0,1] neg_hi:[0,0,1]
	v_pk_add_f32 v[106:107], v[56:57], v[58:59] neg_lo:[0,1] neg_hi:[0,1]
	v_pk_add_f32 v[58:59], v[56:57], v[58:59]
	v_pk_fma_f32 v[54:55], v[54:55], 2.0, v[56:57] op_sel_hi:[1,0,1] neg_lo:[0,0,1] neg_hi:[0,0,1]
	v_pk_add_f32 v[90:91], v[52:53], v[90:91] neg_lo:[0,1] neg_hi:[0,1]
	v_mov_b32_e32 v105, v87
	v_mov_b32_e32 v107, v59
	v_pk_add_f32 v[58:59], v[54:55], v[92:93] op_sel:[0,1] op_sel_hi:[1,0] neg_lo:[0,1] neg_hi:[0,1]
	v_pk_fma_f32 v[52:53], v[52:53], 2.0, v[90:91] op_sel_hi:[1,0,1] neg_lo:[0,0,1] neg_hi:[0,0,1]
	v_pk_fma_f32 v[86:87], v[88:89], 2.0, v[104:105] op_sel_hi:[1,0,1] neg_lo:[0,0,1] neg_hi:[0,0,1]
	;; [unrolled: 1-line block ×4, first 2 shown]
	ds_write2_b64 v62, v[52:53], v[86:87] offset1:231
	ds_write2_b64 v128, v[90:91], v[104:105] offset0:14 offset1:245
	ds_write2_b64 v129, v[54:55], v[56:57] offset0:12 offset1:243
	;; [unrolled: 1-line block ×3, first 2 shown]
	s_waitcnt lgkmcnt(0)
	s_barrier
	global_load_dwordx2 v[90:91], v[48:49], off offset:1024
	global_load_dwordx2 v[88:89], v[48:49], off offset:2872
	;; [unrolled: 1-line block ×3, first 2 shown]
	v_add_co_u32_e32 v48, vcc, s19, v118
	s_movk_i32 s19, 0x4000
	s_nop 0
	v_addc_co_u32_e32 v49, vcc, 0, v119, vcc
	global_load_dwordx2 v[92:93], v[48:49], off offset:3272
	ds_read2_b64 v[52:55], v130 offset0:10 offset1:241
	ds_read2_b64 v[56:59], v129 offset0:12 offset1:243
	;; [unrolled: 1-line block ×3, first 2 shown]
	ds_read2_b64 v[112:115], v62 offset1:231
	v_add_co_u32_e32 v60, vcc, s20, v50
	v_lshl_add_u64 v[48:49], v[50:51], 0, s[0:1]
	s_nop 0
	v_addc_co_u32_e32 v61, vcc, 0, v51, vcc
	v_add_co_u32_e32 v116, vcc, s19, v50
	s_movk_i32 s0, 0x5000
	s_nop 0
	v_addc_co_u32_e32 v117, vcc, 0, v51, vcc
	v_add_co_u32_e32 v118, vcc, s21, v50
	s_waitcnt vmcnt(3) lgkmcnt(2)
	v_pk_mul_f32 v[106:107], v[58:59], v[90:91] op_sel:[0,1]
	s_waitcnt vmcnt(2)
	v_pk_mul_f32 v[120:121], v[52:53], v[88:89] op_sel:[0,1]
	s_waitcnt vmcnt(1)
	v_pk_mul_f32 v[104:105], v[54:55], v[86:87] op_sel:[0,1]
	v_pk_fma_f32 v[126:127], v[58:59], v[90:91], v[106:107] op_sel:[0,0,1] op_sel_hi:[1,1,0] neg_lo:[0,0,1] neg_hi:[0,0,1]
	v_pk_fma_f32 v[58:59], v[58:59], v[90:91], v[106:107] op_sel:[0,0,1] op_sel_hi:[1,0,0]
	v_pk_fma_f32 v[106:107], v[52:53], v[88:89], v[120:121] op_sel:[0,0,1] op_sel_hi:[1,1,0] neg_lo:[0,0,1] neg_hi:[0,0,1]
	v_pk_fma_f32 v[52:53], v[52:53], v[88:89], v[120:121] op_sel:[0,0,1] op_sel_hi:[1,0,0]
	v_pk_fma_f32 v[124:125], v[54:55], v[86:87], v[104:105] op_sel:[0,0,1] op_sel_hi:[1,1,0] neg_lo:[0,0,1] neg_hi:[0,0,1]
	s_waitcnt vmcnt(0)
	v_pk_mul_f32 v[122:123], v[56:57], v[92:93] op_sel:[0,1]
	v_pk_fma_f32 v[54:55], v[54:55], v[86:87], v[104:105] op_sel:[0,0,1] op_sel_hi:[1,0,0]
	v_pk_fma_f32 v[120:121], v[56:57], v[92:93], v[122:123] op_sel:[0,0,1] op_sel_hi:[1,1,0] neg_lo:[0,0,1] neg_hi:[0,0,1]
	v_pk_fma_f32 v[56:57], v[56:57], v[92:93], v[122:123] op_sel:[0,0,1] op_sel_hi:[1,0,0]
	v_mov_b32_e32 v127, v59
	v_mov_b32_e32 v107, v53
	;; [unrolled: 1-line block ×4, first 2 shown]
	s_waitcnt lgkmcnt(0)
	v_pk_add_f32 v[52:53], v[114:115], v[126:127] neg_lo:[0,1] neg_hi:[0,1]
	v_pk_add_f32 v[54:55], v[108:109], v[106:107] neg_lo:[0,1] neg_hi:[0,1]
	;; [unrolled: 1-line block ×4, first 2 shown]
	v_pk_fma_f32 v[58:59], v[108:109], 2.0, v[54:55] op_sel_hi:[1,0,1] neg_lo:[0,0,1] neg_hi:[0,0,1]
	v_pk_fma_f32 v[108:109], v[112:113], 2.0, v[56:57] op_sel_hi:[1,0,1] neg_lo:[0,0,1] neg_hi:[0,0,1]
	ds_write2_b64 v129, v[56:57], v[52:53] offset0:12 offset1:243
	v_pk_fma_f32 v[52:53], v[114:115], 2.0, v[52:53] op_sel_hi:[1,0,1] neg_lo:[0,0,1] neg_hi:[0,0,1]
	v_addc_co_u32_e32 v119, vcc, 0, v51, vcc
	v_pk_fma_f32 v[106:107], v[110:111], 2.0, v[104:105] op_sel_hi:[1,0,1] neg_lo:[0,0,1] neg_hi:[0,0,1]
	ds_write2_b64 v62, v[108:109], v[52:53] offset1:231
	ds_write2_b64 v128, v[58:59], v[106:107] offset0:14 offset1:245
	ds_write2_b64 v130, v[54:55], v[104:105] offset0:10 offset1:241
	s_waitcnt lgkmcnt(0)
	s_barrier
	global_load_dwordx2 v[56:57], v[60:61], off offset:2496
	s_nop 0
	global_load_dwordx2 v[60:61], v[116:117], off offset:3328
	global_load_dwordx2 v[120:121], v[118:119], off offset:64
	;; [unrolled: 1-line block ×3, first 2 shown]
	v_add_co_u32_e32 v50, vcc, s0, v50
	v_add_u32_e32 v54, 0x1300, v62
	s_nop 0
	v_addc_co_u32_e32 v51, vcc, 0, v51, vcc
	global_load_dwordx2 v[116:117], v[50:51], off offset:1080
	global_load_dwordx2 v[124:125], v[118:119], off offset:1912
	ds_read2_b64 v[50:53], v62 offset1:231
	v_add_u32_e32 v58, 0x2600, v62
	s_waitcnt vmcnt(5) lgkmcnt(0)
	v_mul_f32_e32 v55, v51, v57
	v_mul_f32_e32 v109, v50, v57
	v_fma_f32 v108, v50, v56, -v55
	v_fmac_f32_e32 v109, v51, v56
	ds_write_b64 v62, v[108:109]
	ds_read2_b64 v[108:111], v54 offset0:8 offset1:239
	ds_read2_b64 v[112:115], v58 offset0:16 offset1:247
	s_waitcnt vmcnt(2)
	v_mul_f32_e32 v59, v53, v123
	v_mul_f32_e32 v57, v52, v123
	v_fma_f32 v56, v52, v122, -v59
	v_fmac_f32_e32 v57, v53, v122
	ds_write_b64 v62, v[56:57] offset:1848
	s_waitcnt lgkmcnt(2)
	v_mul_f32_e32 v50, v109, v61
	v_mul_f32_e32 v51, v108, v61
	s_waitcnt vmcnt(1)
	v_mul_f32_e32 v55, v111, v117
	v_mul_f32_e32 v57, v110, v117
	s_waitcnt lgkmcnt(1)
	v_mul_f32_e32 v52, v113, v121
	v_mul_f32_e32 v53, v112, v121
	s_waitcnt vmcnt(0)
	v_mul_f32_e32 v59, v115, v125
	v_mul_f32_e32 v61, v114, v125
	v_fma_f32 v50, v108, v60, -v50
	v_fmac_f32_e32 v51, v109, v60
	v_fma_f32 v56, v110, v116, -v55
	v_fmac_f32_e32 v57, v111, v116
	;; [unrolled: 2-line block ×4, first 2 shown]
	ds_write2_b64 v54, v[50:51], v[56:57] offset0:8 offset1:239
	ds_write2_b64 v58, v[52:53], v[60:61] offset0:16 offset1:247
	s_and_saveexec_b64 s[0:1], s[10:11]
	s_cbranch_execz .LBB0_17
; %bb.16:
	v_add_co_u32_e32 v52, vcc, s18, v48
	global_load_dwordx2 v[50:51], v[48:49], off offset:3696
	s_nop 0
	v_addc_co_u32_e32 v53, vcc, 0, v49, vcc
	v_add_co_u32_e32 v48, vcc, 0x3000, v48
	global_load_dwordx2 v[52:53], v[52:53], off offset:432
	s_nop 0
	v_addc_co_u32_e32 v49, vcc, 0, v49, vcc
	global_load_dwordx2 v[48:49], v[48:49], off offset:1264
	ds_read_b64 v[56:57], v62 offset:3696
	ds_read_b64 v[60:61], v62 offset:8624
	;; [unrolled: 1-line block ×3, first 2 shown]
	s_waitcnt vmcnt(2) lgkmcnt(2)
	v_mul_f32_e32 v55, v57, v51
	v_mul_f32_e32 v111, v56, v51
	v_fma_f32 v110, v56, v50, -v55
	v_fmac_f32_e32 v111, v57, v50
	ds_write_b64 v62, v[110:111] offset:3696
	s_waitcnt vmcnt(1) lgkmcnt(2)
	v_mul_f32_e32 v50, v61, v53
	v_mul_f32_e32 v51, v60, v53
	v_fma_f32 v50, v60, v52, -v50
	v_fmac_f32_e32 v51, v61, v52
	s_waitcnt vmcnt(0) lgkmcnt(1)
	v_mul_f32_e32 v52, v109, v49
	v_mul_f32_e32 v53, v108, v49
	v_fma_f32 v52, v108, v48, -v52
	v_fmac_f32_e32 v53, v109, v48
	ds_write_b64 v62, v[50:51] offset:8624
	ds_write_b64 v62, v[52:53] offset:13552
.LBB0_17:
	s_or_b64 exec, exec, s[0:1]
	s_waitcnt lgkmcnt(0)
	s_barrier
	ds_read2_b64 v[50:53], v62 offset1:231
	ds_read2_b64 v[54:57], v54 offset0:8 offset1:239
	ds_read2_b64 v[58:61], v58 offset0:16 offset1:247
	s_and_saveexec_b64 s[0:1], s[10:11]
	s_cbranch_execz .LBB0_19
; %bb.18:
	ds_read_b64 v[106:107], v62 offset:3696
	ds_read_b64 v[104:105], v62 offset:8624
	;; [unrolled: 1-line block ×3, first 2 shown]
.LBB0_19:
	s_or_b64 exec, exec, s[0:1]
	s_waitcnt lgkmcnt(0)
	v_pk_add_f32 v[108:109], v[54:55], v[58:59]
	v_pk_add_f32 v[48:49], v[50:51], v[54:55]
	v_pk_add_f32 v[110:111], v[54:55], v[58:59] neg_lo:[0,1] neg_hi:[0,1]
	v_pk_add_f32 v[48:49], v[48:49], v[58:59]
	v_pk_fma_f32 v[50:51], v[108:109], 0.5, v[50:51] op_sel_hi:[1,0,1] neg_lo:[1,0,0] neg_hi:[1,0,0]
	s_mov_b32 s0, 0x3f5db3d7
	v_pk_add_f32 v[54:55], v[56:57], v[60:61]
	v_pk_add_f32 v[58:59], v[56:57], v[60:61] neg_lo:[0,1] neg_hi:[0,1]
	v_pk_fma_f32 v[108:109], v[110:111], s[0:1], v[50:51] op_sel:[0,0,1] op_sel_hi:[1,0,0]
	v_pk_fma_f32 v[114:115], v[110:111], s[0:1], v[50:51] op_sel:[0,0,1] op_sel_hi:[1,0,0] neg_lo:[1,0,0] neg_hi:[1,0,0]
	v_pk_add_f32 v[50:51], v[52:53], v[56:57]
	v_pk_fma_f32 v[52:53], v[54:55], 0.5, v[52:53] op_sel_hi:[1,0,1] neg_lo:[1,0,0] neg_hi:[1,0,0]
	v_pk_mul_f32 v[54:55], v[58:59], s[0:1] op_sel_hi:[1,0]
	v_pk_add_f32 v[56:57], v[104:105], v[102:103] neg_lo:[0,1] neg_hi:[0,1]
	v_pk_add_f32 v[110:111], v[52:53], v[54:55] op_sel:[0,1] op_sel_hi:[1,0]
	v_pk_add_f32 v[52:53], v[52:53], v[54:55] op_sel:[0,1] op_sel_hi:[1,0] neg_lo:[0,1] neg_hi:[0,1]
	v_pk_add_f32 v[54:55], v[102:103], v[104:105]
	v_pk_add_f32 v[58:59], v[104:105], v[106:107]
	v_pk_fma_f32 v[54:55], v[54:55], 0.5, v[106:107] op_sel_hi:[1,0,1] neg_lo:[1,0,0] neg_hi:[1,0,0]
	v_pk_mul_f32 v[56:57], v[56:57], s[0:1] op_sel_hi:[1,0]
	v_pk_add_f32 v[116:117], v[102:103], v[58:59]
	v_pk_add_f32 v[112:113], v[54:55], v[56:57] op_sel:[0,1] op_sel_hi:[1,0]
	v_pk_add_f32 v[58:59], v[54:55], v[56:57] op_sel:[0,1] op_sel_hi:[1,0] neg_lo:[0,1] neg_hi:[0,1]
	v_mov_b32_e32 v54, v115
	v_mov_b32_e32 v55, v108
	s_barrier
	ds_write2_b64 v67, v[48:49], v[54:55] offset1:1
	v_mov_b32_e32 v54, v109
	v_mov_b32_e32 v55, v114
	v_pk_add_f32 v[50:51], v[50:51], v[60:61]
	ds_write_b64 v67, v[54:55] offset:16
	v_mov_b32_e32 v54, v52
	v_mov_b32_e32 v55, v111
	ds_write2_b64 v69, v[50:51], v[54:55] offset1:1
	v_mov_b32_e32 v54, v110
	v_mov_b32_e32 v55, v53
	ds_write_b64 v69, v[54:55] offset:16
	s_and_saveexec_b64 s[0:1], s[10:11]
	s_cbranch_execz .LBB0_21
; %bb.20:
	v_lshlrev_b32_e32 v56, 3, v174
	v_mov_b32_e32 v54, v58
	v_mov_b32_e32 v55, v113
	ds_write2_b64 v56, v[116:117], v[54:55] offset1:1
	v_mov_b32_e32 v54, v112
	v_mov_b32_e32 v55, v59
	ds_write_b64 v56, v[54:55] offset:16
.LBB0_21:
	s_or_b64 exec, exec, s[0:1]
	s_waitcnt lgkmcnt(0)
	s_barrier
	s_and_saveexec_b64 s[0:1], s[6:7]
	s_xor_b64 s[0:1], exec, s[0:1]
	s_andn2_saveexec_b64 s[0:1], s[0:1]
	s_cbranch_execz .LBB0_23
; %bb.22:
	v_add_u32_e32 v52, 0x800, v62
	ds_read2_b64 v[102:105], v52 offset0:80 offset1:248
	v_add_u32_e32 v52, 0x1400, v62
	v_add_u32_e32 v53, 0x2800, v62
	;; [unrolled: 1-line block ×3, first 2 shown]
	ds_read2_b64 v[48:51], v62 offset1:168
	ds_read_b64 v[98:99], v62 offset:13440
	ds_read2_b64 v[106:109], v53 offset0:64 offset1:232
	ds_read2_b64 v[52:55], v52 offset0:32 offset1:200
	;; [unrolled: 1-line block ×3, first 2 shown]
	s_waitcnt lgkmcnt(5)
	v_mov_b32_e32 v114, v103
	s_waitcnt lgkmcnt(3)
	v_mov_b32_e32 v100, v99
	;; [unrolled: 2-line block ×3, first 2 shown]
	v_mov_b32_e32 v99, v109
	v_mov_b32_e32 v112, v106
	s_waitcnt lgkmcnt(0)
	v_mov_b32_e32 v113, v59
	v_mov_b32_e32 v110, v54
	;; [unrolled: 1-line block ×8, first 2 shown]
	v_mov_b64_e32 v[116:117], v[56:57]
	v_mov_b64_e32 v[50:51], v[104:105]
.LBB0_23:
	s_or_b64 exec, exec, s[0:1]
	v_mov_b32_e32 v56, v45
	v_mov_b32_e32 v54, v115
	v_pk_mul_f32 v[56:57], v[56:57], v[108:109]
	v_pk_mul_f32 v[104:105], v[16:17], v[50:51] op_sel:[0,1]
	v_pk_fma_f32 v[54:55], v[44:45], v[54:55], v[56:57]
	v_pk_mul_f32 v[56:57], v[44:45], v[114:115]
	v_pk_mul_f32 v[106:107], v[18:19], v[110:111] op_sel:[0,1]
	v_mov_b32_e32 v56, v57
	v_pk_fma_f32 v[56:57], v[44:45], v[108:109], v[56:57] neg_lo:[0,0,1] neg_hi:[0,0,1]
	v_pk_mul_f32 v[44:45], v[46:47], v[114:115] op_sel_hi:[1,0]
	v_pk_mul_f32 v[114:115], v[12:13], v[52:53] op_sel:[0,1]
	v_pk_mul_f32 v[118:119], v[14:15], v[116:117] op_sel:[0,1]
	v_pk_fma_f32 v[60:61], v[46:47], v[108:109], v[44:45] op_sel:[0,1,1] op_sel_hi:[1,1,0]
	v_pk_fma_f32 v[122:123], v[46:47], v[108:109], v[44:45] op_sel:[0,1,1] op_sel_hi:[1,1,0] neg_lo:[1,0,0] neg_hi:[1,0,0]
	v_pk_fma_f32 v[102:103], v[16:17], v[50:51], v[104:105] op_sel:[0,0,1] op_sel_hi:[1,0,0]
	v_pk_fma_f32 v[130:131], v[16:17], v[50:51], v[104:105] op_sel:[0,0,1] op_sel_hi:[1,0,0] neg_lo:[1,0,0] neg_hi:[1,0,0]
	;; [unrolled: 2-line block ×3, first 2 shown]
	v_pk_fma_f32 v[106:107], v[12:13], v[110:111], v[114:115] op_sel:[0,0,1] op_sel_hi:[1,0,0]
	v_pk_fma_f32 v[108:109], v[14:15], v[116:117], v[118:119] op_sel:[0,0,1] op_sel_hi:[1,0,0]
	v_pk_mul_f32 v[132:133], v[38:39], v[58:59] op_sel:[0,1]
	v_pk_mul_f32 v[136:137], v[30:31], v[100:101] op_sel_hi:[1,0]
	v_pk_fma_f32 v[124:125], v[12:13], v[110:111], v[114:115] op_sel:[0,0,1] op_sel_hi:[1,0,0] neg_lo:[1,0,0] neg_hi:[1,0,0]
	v_pk_fma_f32 v[128:129], v[14:15], v[116:117], v[118:119] op_sel:[0,0,1] op_sel_hi:[1,0,0] neg_lo:[1,0,0] neg_hi:[1,0,0]
	v_pk_add_f32 v[18:19], v[106:107], v[108:109]
	v_pk_add_f32 v[14:15], v[106:107], v[108:109] neg_lo:[0,1] neg_hi:[0,1]
	v_pk_mul_f32 v[134:135], v[28:29], v[98:99] op_sel:[0,1]
	v_pk_fma_f32 v[114:115], v[38:39], v[112:113], v[132:133] op_sel:[0,0,1] op_sel_hi:[1,0,0]
	v_pk_fma_f32 v[140:141], v[38:39], v[112:113], v[132:133] op_sel:[0,0,1] op_sel_hi:[1,0,0] neg_lo:[1,0,0] neg_hi:[1,0,0]
	v_pk_fma_f32 v[118:119], v[30:31], v[98:99], v[136:137] op_sel:[0,0,1] op_sel_hi:[1,0,0]
	v_mov_b32_e32 v19, v14
	v_pk_add_f32 v[14:15], v[124:125], v[128:129] neg_lo:[0,1] neg_hi:[0,1]
	v_pk_add_f32 v[38:39], v[124:125], v[128:129]
	v_pk_fma_f32 v[116:117], v[28:29], v[100:101], v[134:135] op_sel:[0,1,1] op_sel_hi:[1,1,0]
	v_pk_fma_f32 v[138:139], v[28:29], v[100:101], v[134:135] op_sel:[0,1,1] op_sel_hi:[1,1,0] neg_lo:[1,0,0] neg_hi:[1,0,0]
	v_pk_fma_f32 v[136:137], v[30:31], v[98:99], v[136:137] op_sel:[0,0,1] op_sel_hi:[1,0,0] neg_lo:[1,0,0] neg_hi:[1,0,0]
	v_mov_b32_e32 v38, v15
	v_pk_add_f32 v[28:29], v[54:55], v[118:119]
	v_pk_add_f32 v[14:15], v[54:55], v[118:119] neg_lo:[0,1] neg_hi:[0,1]
	v_pk_mul_f32 v[126:127], v[36:37], v[112:113] op_sel:[0,1]
	v_mov_b32_e32 v29, v14
	v_pk_add_f32 v[50:51], v[56:57], v[136:137] op_sel:[0,1] neg_lo:[0,1] neg_hi:[0,1]
	v_pk_add_f32 v[14:15], v[56:57], v[136:137] op_sel_hi:[0,1]
	v_pk_add_f32 v[46:47], v[60:61], v[116:117]
	v_pk_add_f32 v[52:53], v[60:61], v[116:117] neg_lo:[0,1] neg_hi:[0,1]
	v_pk_fma_f32 v[110:111], v[36:37], v[58:59], v[126:127] op_sel:[0,0,1] op_sel_hi:[1,0,0]
	v_pk_fma_f32 v[126:127], v[36:37], v[58:59], v[126:127] op_sel:[0,0,1] op_sel_hi:[1,0,0] neg_lo:[1,0,0] neg_hi:[1,0,0]
	v_mov_b32_e32 v51, v15
	s_mov_b32 s21, 0x3ed4b147
	s_mov_b32 s20, 0xbf68dda4
	;; [unrolled: 1-line block ×3, first 2 shown]
	v_mov_b32_e32 v47, v52
	v_pk_add_f32 v[52:53], v[122:123], v[138:139] neg_lo:[0,1] neg_hi:[0,1]
	v_pk_add_f32 v[58:59], v[122:123], v[138:139]
	v_pk_mul_f32 v[132:133], v[50:51], s[20:21]
	s_mov_b32 s38, s21
	s_mov_b32 s39, s20
	;; [unrolled: 1-line block ×3, first 2 shown]
	v_mov_b32_e32 v58, v53
	v_pk_fma_f32 v[14:15], v[28:29], s[38:39], v[132:133] neg_lo:[0,0,1] neg_hi:[0,0,1]
	v_pk_fma_f32 v[134:135], v[28:29], s[38:39], v[132:133]
	s_mov_b32 s18, s23
	s_mov_b32 s19, s22
	v_pk_mul_f32 v[150:151], v[58:59], s[22:23]
	v_mov_b32_e32 v15, v135
	v_pk_fma_f32 v[52:53], v[46:47], s[18:19], v[150:151] neg_lo:[0,0,1] neg_hi:[0,0,1]
	v_pk_fma_f32 v[148:149], v[46:47], s[18:19], v[150:151]
	v_pk_add_f32 v[14:15], v[48:49], v[14:15]
	v_mov_b32_e32 v53, v149
	s_mov_b32 s6, 0xbe903f40
	v_pk_add_f32 v[14:15], v[52:53], v[14:15]
	v_pk_add_f32 v[52:53], v[102:103], v[114:115]
	v_pk_add_f32 v[112:113], v[102:103], v[114:115] neg_lo:[0,1] neg_hi:[0,1]
	s_mov_b32 s7, 0xbf75a155
	v_mov_b32_e32 v53, v112
	v_pk_add_f32 v[142:143], v[130:131], v[140:141] neg_lo:[0,1] neg_hi:[0,1]
	v_pk_add_f32 v[112:113], v[130:131], v[140:141]
	s_mov_b32 s30, 0x3e903f40
	v_mov_b32_e32 v112, v143
	s_mov_b32 s31, s7
	v_pk_mul_f32 v[156:157], v[112:113], s[30:31]
	s_mov_b32 s40, s7
	s_mov_b32 s41, s30
	;; [unrolled: 1-line block ×4, first 2 shown]
	v_pk_mul_f32 v[160:161], v[50:51], s[22:23]
	v_pk_fma_f32 v[142:143], v[52:53], s[40:41], v[156:157] neg_lo:[0,0,1] neg_hi:[0,0,1]
	v_pk_fma_f32 v[158:159], v[52:53], s[40:41], v[156:157]
	s_mov_b32 s27, 0xbe11bafb
	s_mov_b32 s37, 0x3f575c64
	v_pk_fma_f32 v[98:99], v[28:29], s[18:19], v[160:161] neg_lo:[0,0,1] neg_hi:[0,0,1]
	v_pk_fma_f32 v[100:101], v[28:29], s[18:19], v[160:161]
	v_mov_b32_e32 v143, v159
	v_pk_mul_f32 v[144:145], v[58:59], s[26:27]
	s_mov_b32 s42, s27
	s_mov_b32 s43, s26
	;; [unrolled: 1-line block ×4, first 2 shown]
	v_pk_mul_f32 v[184:185], v[50:51], s[36:37]
	v_pk_add_f32 v[16:17], v[104:105], v[110:111]
	v_pk_add_f32 v[12:13], v[104:105], v[110:111] neg_lo:[0,1] neg_hi:[0,1]
	v_pk_add_f32 v[14:15], v[142:143], v[14:15]
	v_mov_b32_e32 v99, v101
	v_pk_fma_f32 v[142:143], v[46:47], s[42:43], v[144:145] neg_lo:[0,0,1] neg_hi:[0,0,1]
	v_pk_fma_f32 v[146:147], v[46:47], s[42:43], v[144:145]
	v_pk_fma_f32 v[172:173], v[28:29], s[44:45], v[184:185] neg_lo:[0,0,1] neg_hi:[0,0,1]
	v_pk_fma_f32 v[182:183], v[28:29], s[44:45], v[184:185]
	v_pk_mul_f32 v[188:189], v[58:59], s[20:21]
	v_mov_b32_e32 v17, v12
	v_pk_add_f32 v[12:13], v[120:121], v[126:127] neg_lo:[0,1] neg_hi:[0,1]
	v_pk_add_f32 v[30:31], v[120:121], v[126:127]
	v_pk_add_f32 v[98:99], v[48:49], v[98:99]
	v_mov_b32_e32 v143, v147
	v_pk_mul_f32 v[152:153], v[112:113], s[36:37]
	v_mov_b32_e32 v173, v183
	v_pk_fma_f32 v[174:175], v[46:47], s[38:39], v[188:189] neg_lo:[0,0,1] neg_hi:[0,0,1]
	v_pk_fma_f32 v[186:187], v[46:47], s[38:39], v[188:189]
	s_mov_b32 s28, 0xbf7d64f0
	s_mov_b32 s29, s27
	v_mov_b32_e32 v30, v13
	v_pk_add_f32 v[98:99], v[142:143], v[98:99]
	v_pk_fma_f32 v[142:143], v[52:53], s[44:45], v[152:153] neg_lo:[0,0,1] neg_hi:[0,0,1]
	v_pk_fma_f32 v[154:155], v[52:53], s[44:45], v[152:153]
	v_pk_add_f32 v[172:173], v[48:49], v[172:173]
	v_mov_b32_e32 v175, v187
	v_pk_mul_f32 v[196:197], v[112:113], s[28:29]
	s_mov_b32 s24, s27
	s_mov_b32 s25, s28
	v_mov_b32_e32 v143, v155
	v_pk_mul_f32 v[164:165], v[30:31], s[22:23]
	v_pk_add_f32 v[172:173], v[174:175], v[172:173]
	v_pk_fma_f32 v[174:175], v[52:53], s[24:25], v[196:197] neg_lo:[0,0,1] neg_hi:[0,0,1]
	v_pk_fma_f32 v[202:203], v[52:53], s[24:25], v[196:197]
	v_pk_mul_f32 v[36:37], v[30:31], s[6:7]
	s_mov_b32 s0, s7
	s_mov_b32 s1, s6
	v_pk_add_f32 v[98:99], v[142:143], v[98:99]
	v_pk_fma_f32 v[142:143], v[16:17], s[18:19], v[164:165] neg_lo:[0,0,1] neg_hi:[0,0,1]
	v_pk_fma_f32 v[162:163], v[16:17], s[18:19], v[164:165]
	v_pk_mul_f32 v[168:169], v[38:39], s[6:7]
	v_mov_b32_e32 v175, v203
	v_pk_mul_f32 v[198:199], v[50:51], s[28:29]
	v_pk_fma_f32 v[12:13], v[16:17], s[0:1], v[36:37] neg_lo:[0,0,1] neg_hi:[0,0,1]
	v_pk_fma_f32 v[44:45], v[16:17], s[0:1], v[36:37]
	v_mov_b32_e32 v143, v163
	v_pk_fma_f32 v[170:171], v[18:19], s[0:1], v[168:169] neg_lo:[0,0,1] neg_hi:[0,0,1]
	v_pk_fma_f32 v[166:167], v[18:19], s[0:1], v[168:169]
	v_pk_add_f32 v[172:173], v[174:175], v[172:173]
	v_pk_mul_f32 v[176:177], v[30:31], s[26:27]
	s_mov_b32 s34, 0x3f0a6770
	s_mov_b32 s35, s37
	v_pk_fma_f32 v[190:191], v[28:29], s[24:25], v[198:199] neg_lo:[0,0,1] neg_hi:[0,0,1]
	v_pk_fma_f32 v[194:195], v[28:29], s[24:25], v[198:199]
	v_pk_mul_f32 v[204:205], v[58:59], s[30:31]
	v_mov_b32_e32 v13, v45
	v_mov_b32_e32 v171, v167
	v_pk_add_f32 v[142:143], v[142:143], v[172:173]
	v_pk_fma_f32 v[172:173], v[16:17], s[42:43], v[176:177] neg_lo:[0,0,1] neg_hi:[0,0,1]
	v_pk_fma_f32 v[174:175], v[16:17], s[42:43], v[176:177]
	v_pk_mul_f32 v[178:179], v[38:39], s[34:35]
	s_mov_b32 s26, s37
	s_mov_b32 s27, s34
	v_mov_b32_e32 v191, v195
	v_pk_fma_f32 v[192:193], v[46:47], s[40:41], v[204:205] neg_lo:[0,0,1] neg_hi:[0,0,1]
	v_pk_fma_f32 v[200:201], v[46:47], s[40:41], v[204:205]
	s_mov_b32 s20, 0x3f68dda4
	v_mov_b32_e32 v173, v175
	v_pk_add_f32 v[12:13], v[12:13], v[98:99]
	v_pk_add_f32 v[98:99], v[170:171], v[142:143]
	v_pk_fma_f32 v[142:143], v[18:19], s[26:27], v[178:179] neg_lo:[0,0,1] neg_hi:[0,0,1]
	v_pk_fma_f32 v[180:181], v[18:19], s[26:27], v[178:179]
	v_pk_add_f32 v[190:191], v[48:49], v[190:191]
	v_mov_b32_e32 v193, v201
	v_pk_mul_f32 v[206:207], v[112:113], s[20:21]
	s_mov_b32 s30, s21
	s_mov_b32 s31, s20
	v_pk_add_f32 v[14:15], v[172:173], v[14:15]
	v_mov_b32_e32 v143, v181
	v_pk_mul_f32 v[172:173], v[30:31], s[36:37]
	v_pk_add_f32 v[190:191], v[192:193], v[190:191]
	v_pk_fma_f32 v[192:193], v[52:53], s[30:31], v[206:207] neg_lo:[0,0,1] neg_hi:[0,0,1]
	v_pk_fma_f32 v[212:213], v[52:53], s[30:31], v[206:207]
	v_pk_add_f32 v[14:15], v[142:143], v[14:15]
	v_pk_fma_f32 v[142:143], v[16:17], s[44:45], v[172:173] neg_lo:[0,0,1] neg_hi:[0,0,1]
	v_pk_fma_f32 v[170:171], v[16:17], s[44:45], v[172:173]
	v_mov_b32_e32 v193, v213
	v_mov_b32_e32 v143, v171
	v_pk_add_f32 v[190:191], v[192:193], v[190:191]
	v_pk_mul_f32 v[210:211], v[38:39], s[22:23]
	v_pk_add_f32 v[142:143], v[142:143], v[190:191]
	v_pk_fma_f32 v[190:191], v[18:19], s[18:19], v[210:211] neg_lo:[0,0,1] neg_hi:[0,0,1]
	v_pk_fma_f32 v[208:209], v[18:19], s[18:19], v[210:211]
	v_pk_mul_f32 v[192:193], v[38:39], s[20:21]
	v_mov_b32_e32 v191, v209
	v_pk_add_f32 v[142:143], v[190:191], v[142:143]
	v_pk_fma_f32 v[218:219], v[18:19], s[30:31], v[192:193] neg_lo:[0,0,1] neg_hi:[0,0,1]
	v_pk_fma_f32 v[190:191], v[18:19], s[30:31], v[192:193]
	s_nop 0
	v_mov_b32_e32 v219, v191
	v_pk_add_f32 v[12:13], v[218:219], v[12:13]
	s_barrier
	s_and_saveexec_b64 s[36:37], s[2:3]
	s_cbranch_execz .LBB0_25
; %bb.24:
	v_mov_b32_e32 v55, v56
	v_mov_b32_e32 v61, v123
	v_pk_add_f32 v[54:55], v[48:49], v[54:55]
	v_mov_b32_e32 v103, v131
	v_pk_add_f32 v[54:55], v[60:61], v[54:55]
	v_pk_mul_f32 v[236:237], v[28:29], s[44:45]
	v_mov_b32_e32 v105, v121
	v_pk_add_f32 v[54:55], v[102:103], v[54:55]
	v_pk_mul_f32 v[238:239], v[46:47], s[38:39]
	v_mov_b32_e32 v107, v125
	v_pk_add_f32 v[54:55], v[104:105], v[54:55]
	v_pk_add_f32 v[56:57], v[184:185], v[236:237] neg_lo:[0,1] neg_hi:[0,1]
	v_pk_mul_f32 v[240:241], v[52:53], s[24:25]
	v_mov_b32_e32 v109, v129
	v_pk_add_f32 v[54:55], v[106:107], v[54:55]
	v_mov_b32_e32 v183, v57
	v_pk_add_f32 v[60:61], v[188:189], v[238:239] neg_lo:[0,1] neg_hi:[0,1]
	v_pk_mul_f32 v[232:233], v[16:17], s[18:19]
	v_mov_b32_e32 v111, v127
	v_pk_add_f32 v[54:55], v[108:109], v[54:55]
	v_pk_add_f32 v[56:57], v[48:49], v[182:183]
	v_mov_b32_e32 v187, v61
	v_pk_add_f32 v[60:61], v[196:197], v[240:241] neg_lo:[0,1] neg_hi:[0,1]
	v_pk_mul_f32 v[234:235], v[18:19], s[0:1]
	v_mov_b32_e32 v115, v141
	v_pk_add_f32 v[54:55], v[110:111], v[54:55]
	v_pk_add_f32 v[56:57], v[186:187], v[56:57]
	v_mov_b32_e32 v203, v61
	v_pk_add_f32 v[60:61], v[164:165], v[232:233] neg_lo:[0,1] neg_hi:[0,1]
	v_mov_b32_e32 v117, v139
	v_pk_add_f32 v[54:55], v[114:115], v[54:55]
	v_pk_add_f32 v[56:57], v[202:203], v[56:57]
	v_mov_b32_e32 v163, v61
	v_pk_add_f32 v[60:61], v[168:169], v[234:235] neg_lo:[0,1] neg_hi:[0,1]
	v_mov_b32_e32 v45, v216
	v_mov_b32_e32 v119, v137
	v_pk_add_f32 v[54:55], v[116:117], v[54:55]
	v_pk_add_f32 v[56:57], v[162:163], v[56:57]
	v_mov_b32_e32 v167, v61
	v_pk_mul_f32 v[224:225], v[46:47], s[18:19]
	v_add_lshl_u32 v63, v45, v63, 3
	v_pk_add_f32 v[54:55], v[118:119], v[54:55]
	v_pk_add_f32 v[56:57], v[166:167], v[56:57]
	v_pk_mul_f32 v[226:227], v[52:53], s[40:41]
	ds_write2_b64 v63, v[54:55], v[56:57] offset1:3
	v_pk_add_f32 v[56:57], v[150:151], v[224:225] neg_lo:[0,1] neg_hi:[0,1]
	v_pk_mul_f32 v[242:243], v[16:17], s[42:43]
	v_mov_b32_e32 v149, v57
	v_pk_add_f32 v[56:57], v[156:157], v[226:227] neg_lo:[0,1] neg_hi:[0,1]
	v_pk_mul_f32 v[244:245], v[18:19], s[26:27]
	v_mov_b32_e32 v159, v57
	v_pk_add_f32 v[56:57], v[176:177], v[242:243] neg_lo:[0,1] neg_hi:[0,1]
	v_pk_mul_f32 v[220:221], v[28:29], s[38:39]
	v_pk_mul_f32 v[248:249], v[28:29], s[24:25]
	v_mov_b32_e32 v175, v57
	v_pk_add_f32 v[56:57], v[178:179], v[244:245] neg_lo:[0,1] neg_hi:[0,1]
	v_pk_mul_f32 v[250:251], v[46:47], s[40:41]
	v_pk_add_f32 v[54:55], v[132:133], v[220:221] neg_lo:[0,1] neg_hi:[0,1]
	v_mov_b32_e32 v181, v57
	v_pk_add_f32 v[56:57], v[198:199], v[248:249] neg_lo:[0,1] neg_hi:[0,1]
	v_pk_mul_f32 v[252:253], v[52:53], s[30:31]
	v_mov_b32_e32 v135, v55
	v_mov_b32_e32 v195, v57
	v_pk_add_f32 v[60:61], v[204:205], v[250:251] neg_lo:[0,1] neg_hi:[0,1]
	v_pk_mul_f32 v[246:247], v[16:17], s[44:45]
	v_pk_add_f32 v[54:55], v[48:49], v[134:135]
	v_pk_add_f32 v[56:57], v[48:49], v[194:195]
	v_mov_b32_e32 v201, v61
	v_pk_add_f32 v[60:61], v[206:207], v[252:253] neg_lo:[0,1] neg_hi:[0,1]
	v_pk_mul_f32 v[254:255], v[18:19], s[18:19]
	v_pk_add_f32 v[54:55], v[148:149], v[54:55]
	v_pk_add_f32 v[56:57], v[200:201], v[56:57]
	v_mov_b32_e32 v213, v61
	v_pk_add_f32 v[60:61], v[172:173], v[246:247] neg_lo:[0,1] neg_hi:[0,1]
	v_pk_add_f32 v[54:55], v[158:159], v[54:55]
	v_pk_add_f32 v[56:57], v[212:213], v[56:57]
	v_mov_b32_e32 v171, v61
	v_pk_add_f32 v[60:61], v[210:211], v[254:255] neg_lo:[0,1] neg_hi:[0,1]
	v_pk_mul_f32 v[222:223], v[28:29], s[18:19]
	v_pk_add_f32 v[54:55], v[174:175], v[54:55]
	v_pk_add_f32 v[56:57], v[170:171], v[56:57]
	v_mov_b32_e32 v209, v61
	v_pk_mul_f32 v[228:229], v[46:47], s[42:43]
	v_pk_add_f32 v[120:121], v[160:161], v[222:223] neg_lo:[0,1] neg_hi:[0,1]
	v_pk_add_f32 v[54:55], v[180:181], v[54:55]
	v_pk_add_f32 v[56:57], v[208:209], v[56:57]
	v_pk_mul_f32 v[230:231], v[52:53], s[44:45]
	v_mov_b32_e32 v101, v121
	ds_write2_b64 v63, v[54:55], v[56:57] offset0:6 offset1:9
	v_pk_add_f32 v[56:57], v[144:145], v[228:229] neg_lo:[0,1] neg_hi:[0,1]
	v_pk_mul_f32 v[218:219], v[16:17], s[0:1]
	v_pk_add_f32 v[54:55], v[48:49], v[100:101]
	v_mov_b32_e32 v147, v57
	v_pk_add_f32 v[56:57], v[152:153], v[230:231] neg_lo:[0,1] neg_hi:[0,1]
	v_pk_add_f32 v[54:55], v[146:147], v[54:55]
	v_mov_b32_e32 v155, v57
	v_pk_add_f32 v[36:37], v[36:37], v[218:219] neg_lo:[0,1] neg_hi:[0,1]
	v_pk_mul_f32 v[216:217], v[18:19], s[30:31]
	v_pk_add_f32 v[54:55], v[154:155], v[54:55]
	v_mov_b32_e32 v45, v37
	v_pk_add_f32 v[36:37], v[44:45], v[54:55]
	v_pk_add_f32 v[44:45], v[192:193], v[216:217] neg_lo:[0,1] neg_hi:[0,1]
	v_pk_mul_f32 v[54:55], v[112:113], s[22:23]
	v_mov_b32_e32 v191, v45
	v_pk_mul_f32 v[44:45], v[50:51], s[6:7]
	v_pk_mul_f32 v[50:51], v[58:59], s[34:35]
	v_pk_fma_f32 v[56:57], v[28:29], s[0:1], v[44:45]
	v_pk_fma_f32 v[58:59], v[28:29], s[0:1], v[44:45] neg_lo:[1,0,0] neg_hi:[1,0,0]
	v_pk_fma_f32 v[60:61], v[46:47], s[26:27], v[50:51]
	v_mov_b32_e32 v58, v56
	v_pk_fma_f32 v[100:101], v[46:47], s[26:27], v[50:51] neg_lo:[1,0,0] neg_hi:[1,0,0]
	v_pk_add_f32 v[58:59], v[48:49], v[58:59]
	v_mov_b32_e32 v100, v60
	v_pk_add_f32 v[58:59], v[100:101], v[58:59]
	v_pk_fma_f32 v[100:101], v[52:53], s[18:19], v[54:55]
	v_pk_fma_f32 v[102:103], v[52:53], s[18:19], v[54:55] neg_lo:[1,0,0] neg_hi:[1,0,0]
	v_pk_mul_f32 v[30:31], v[30:31], s[20:21]
	v_mov_b32_e32 v102, v100
	v_pk_add_f32 v[58:59], v[102:103], v[58:59]
	v_pk_fma_f32 v[102:103], v[16:17], s[30:31], v[30:31]
	v_pk_fma_f32 v[104:105], v[16:17], s[30:31], v[30:31] neg_lo:[1,0,0] neg_hi:[1,0,0]
	v_pk_mul_f32 v[38:39], v[38:39], s[28:29]
	v_mov_b32_e32 v104, v102
	v_pk_add_f32 v[58:59], v[104:105], v[58:59]
	v_pk_fma_f32 v[104:105], v[18:19], s[24:25], v[38:39]
	v_pk_fma_f32 v[106:107], v[18:19], s[24:25], v[38:39] neg_lo:[1,0,0] neg_hi:[1,0,0]
	v_pk_add_f32 v[36:37], v[190:191], v[36:37]
	v_mov_b32_e32 v106, v104
	v_pk_add_f32 v[58:59], v[106:107], v[58:59]
	v_pk_fma_f32 v[28:29], v[28:29], s[0:1], v[44:45] neg_lo:[0,0,1] neg_hi:[0,0,1]
	ds_write2_b64 v63, v[36:37], v[58:59] offset0:12 offset1:15
	v_mov_b32_e32 v29, v57
	v_pk_fma_f32 v[36:37], v[46:47], s[26:27], v[50:51] neg_lo:[0,0,1] neg_hi:[0,0,1]
	v_pk_add_f32 v[28:29], v[48:49], v[28:29]
	v_mov_b32_e32 v37, v61
	v_pk_add_f32 v[28:29], v[36:37], v[28:29]
	v_pk_fma_f32 v[36:37], v[52:53], s[18:19], v[54:55] neg_lo:[0,0,1] neg_hi:[0,0,1]
	v_pk_fma_f32 v[16:17], v[16:17], s[30:31], v[30:31] neg_lo:[0,0,1] neg_hi:[0,0,1]
	v_mov_b32_e32 v37, v101
	v_pk_add_f32 v[28:29], v[36:37], v[28:29]
	v_mov_b32_e32 v17, v103
	v_pk_fma_f32 v[18:19], v[18:19], s[24:25], v[38:39] neg_lo:[0,0,1] neg_hi:[0,0,1]
	v_pk_add_f32 v[16:17], v[16:17], v[28:29]
	v_mov_b32_e32 v19, v105
	v_pk_add_f32 v[16:17], v[18:19], v[16:17]
	ds_write2_b64 v63, v[16:17], v[12:13] offset0:18 offset1:21
	ds_write2_b64 v63, v[142:143], v[14:15] offset0:24 offset1:27
	ds_write_b64 v63, v[98:99] offset:240
.LBB0_25:
	s_or_b64 exec, exec, s[36:37]
	s_waitcnt lgkmcnt(0)
	s_barrier
	ds_read_b64 v[58:59], v62
	ds_read_b64 v[104:105], v62 offset:2112
	ds_read_b64 v[102:103], v62 offset:4224
	;; [unrolled: 1-line block ×6, first 2 shown]
                                        ; implicit-def: $vgpr56_vgpr57
                                        ; implicit-def: $vgpr52_vgpr53
                                        ; implicit-def: $vgpr54_vgpr55
                                        ; implicit-def: $vgpr50_vgpr51
	s_and_saveexec_b64 s[0:1], s[8:9]
	s_xor_b64 s[0:1], exec, s[0:1]
; %bb.26:
	v_mov_b32_e32 v50, v94
	v_mov_b32_e32 v51, v99
	;; [unrolled: 1-line block ×8, first 2 shown]
; %bb.27:
	s_andn2_saveexec_b64 s[0:1], s[0:1]
	s_cbranch_execz .LBB0_29
; %bb.28:
	ds_read_b64 v[16:17], v62 offset:8184
	ds_read_b64 v[18:19], v62 offset:14520
	;; [unrolled: 1-line block ×7, first 2 shown]
	s_waitcnt lgkmcnt(5)
	v_mov_b32_e32 v50, v18
	v_mov_b32_e32 v51, v17
	;; [unrolled: 1-line block ×4, first 2 shown]
	s_waitcnt lgkmcnt(3)
	v_mov_b32_e32 v52, v28
	s_waitcnt lgkmcnt(1)
	v_mov_b32_e32 v53, v31
	v_mov_b32_e32 v56, v29
	;; [unrolled: 1-line block ×3, first 2 shown]
.LBB0_29:
	s_or_b64 exec, exec, s[0:1]
	s_waitcnt lgkmcnt(3)
	v_pk_mul_f32 v[116:117], v[24:25], v[108:109] op_sel:[0,1] op_sel_hi:[1,0]
	v_pk_mul_f32 v[94:95], v[20:21], v[104:105] op_sel_hi:[1,0]
	v_mov_b32_e32 v96, v105
	v_mov_b32_e32 v116, v117
	s_waitcnt lgkmcnt(2)
	v_pk_mul_f32 v[118:119], v[26:27], v[106:107] op_sel:[0,1] op_sel_hi:[1,0]
	v_pk_mul_f32 v[98:99], v[22:23], v[102:103] op_sel_hi:[1,0]
	v_mov_b32_e32 v110, v103
	v_pk_mul_f32 v[112:113], v[24:25], v[108:109]
	v_mov_b32_e32 v114, v25
	v_pk_fma_f32 v[24:25], v[24:25], v[108:109], v[116:117] op_sel:[0,1,0] op_sel_hi:[1,0,1] neg_lo:[0,0,1] neg_hi:[0,0,1]
	v_mov_b32_e32 v116, v27
	v_mov_b32_e32 v118, v119
	v_pk_fma_f32 v[96:97], v[20:21], v[96:97], v[94:95] op_sel:[0,0,1] op_sel_hi:[1,1,0] neg_lo:[0,0,1] neg_hi:[0,0,1]
	v_pk_fma_f32 v[20:21], v[20:21], v[104:105], v[94:95] op_sel:[0,1,1] op_sel_hi:[1,1,0]
	v_pk_mul_f32 v[114:115], v[114:115], v[108:109] op_sel:[0,1] op_sel_hi:[1,0]
	v_pk_mul_f32 v[108:109], v[26:27], v[106:107]
	v_pk_mul_f32 v[116:117], v[116:117], v[106:107] op_sel:[0,1] op_sel_hi:[1,0]
	v_pk_fma_f32 v[26:27], v[26:27], v[106:107], v[118:119] op_sel:[0,1,0] op_sel_hi:[1,0,1] neg_lo:[0,0,1] neg_hi:[0,0,1]
	s_waitcnt lgkmcnt(1)
	v_pk_mul_f32 v[106:107], v[32:33], v[100:101] op_sel_hi:[1,0]
	v_mov_b32_e32 v118, v101
	v_mov_b32_e32 v97, v21
	v_pk_fma_f32 v[20:21], v[22:23], v[110:111], v[98:99] op_sel:[0,0,1] op_sel_hi:[1,1,0] neg_lo:[0,0,1] neg_hi:[0,0,1]
	v_pk_fma_f32 v[22:23], v[22:23], v[102:103], v[98:99] op_sel:[0,1,1] op_sel_hi:[1,1,0]
	s_waitcnt lgkmcnt(0)
	v_pk_mul_f32 v[120:121], v[34:35], v[60:61] op_sel_hi:[1,0]
	v_mov_b32_e32 v122, v61
	v_mov_b32_e32 v21, v23
	v_pk_fma_f32 v[22:23], v[32:33], v[118:119], v[106:107] op_sel:[0,0,1] op_sel_hi:[1,1,0] neg_lo:[0,0,1] neg_hi:[0,0,1]
	v_pk_fma_f32 v[32:33], v[32:33], v[100:101], v[106:107] op_sel:[0,1,1] op_sel_hi:[1,1,0]
	v_mov_b32_e32 v109, v96
	v_mov_b32_e32 v23, v33
	v_pk_fma_f32 v[32:33], v[34:35], v[122:123], v[120:121] op_sel:[0,0,1] op_sel_hi:[1,1,0] neg_lo:[0,0,1] neg_hi:[0,0,1]
	v_pk_fma_f32 v[34:35], v[34:35], v[60:61], v[120:121] op_sel:[0,1,1] op_sel_hi:[1,1,0]
	v_mov_b32_e32 v117, v32
	v_mov_b32_e32 v33, v35
	;; [unrolled: 1-line block ×4, first 2 shown]
	v_pk_add_f32 v[34:35], v[96:97], v[32:33]
	v_pk_add_f32 v[60:61], v[96:97], v[32:33] neg_lo:[0,1] neg_hi:[0,1]
	v_pk_add_f32 v[94:95], v[20:21], v[22:23]
	v_pk_add_f32 v[98:99], v[20:21], v[22:23] neg_lo:[0,1] neg_hi:[0,1]
	v_pk_add_f32 v[32:33], v[108:109], v[116:117]
	v_pk_add_f32 v[20:21], v[112:113], v[114:115]
	v_mov_b32_e32 v27, v32
	v_mov_b32_e32 v25, v20
	v_pk_add_f32 v[22:23], v[26:27], v[24:25] neg_lo:[0,1] neg_hi:[0,1]
	v_mov_b32_e32 v104, v95
	v_mov_b32_e32 v105, v24
	v_mov_b32_e32 v24, v35
	v_mov_b32_e32 v25, v26
	v_pk_add_f32 v[24:25], v[104:105], v[24:25]
	v_pk_add_f32 v[26:27], v[20:21], v[32:33]
	v_mov_b32_e32 v96, v22
	v_mov_b32_e32 v97, v61
	;; [unrolled: 1-line block ×4, first 2 shown]
	s_mov_b32 s2, 0x3f08b237
	v_mov_b32_e32 v32, v26
	v_mov_b32_e32 v105, v25
	s_mov_b32 s24, 0x3d64c772
	v_pk_add_f32 v[96:97], v[96:97], v[100:101] neg_lo:[0,1] neg_hi:[0,1]
	s_mov_b32 s3, 0xbeae86e6
	v_mov_b32_e32 v100, v60
	v_mov_b32_e32 v102, v22
	;; [unrolled: 1-line block ×3, first 2 shown]
	v_pk_add_f32 v[104:105], v[32:33], v[104:105] neg_lo:[0,1] neg_hi:[0,1]
	v_mov_b32_e32 v106, v35
	v_mov_b32_e32 v107, v25
	;; [unrolled: 1-line block ×3, first 2 shown]
	v_pk_add_f32 v[24:25], v[24:25], v[26:27]
	s_mov_b32 s25, 0x3f4a47b2
	v_pk_mul_f32 v[96:97], v[96:97], s[2:3]
	v_pk_add_f32 v[100:101], v[100:101], v[102:103] neg_lo:[0,1] neg_hi:[0,1]
	s_mov_b32 s6, s3
	s_mov_b32 s7, s2
	v_pk_add_f32 v[22:23], v[22:23], v[98:99]
	v_pk_add_f32 v[106:107], v[106:107], v[20:21] neg_lo:[0,1] neg_hi:[0,1]
	v_pk_add_f32 v[26:27], v[58:59], v[24:25]
	s_mov_b32 s22, 0xbf955555
	v_pk_mul_f32 v[58:59], v[104:105], s[24:25]
	s_mov_b32 s26, s25
	s_mov_b32 s27, s24
	v_pk_mul_f32 v[102:103], v[100:101], s[6:7]
	v_pk_add_f32 v[22:23], v[22:23], v[60:61]
	s_mov_b32 s0, 0xbee1c552
	v_pk_mul_f32 v[104:105], v[106:107], s[26:27]
	v_pk_fma_f32 v[24:25], v[24:25], s[22:23], v[26:27] op_sel_hi:[1,0,1]
	v_pk_fma_f32 v[106:107], v[106:107], s[26:27], v[58:59]
	v_pk_fma_f32 v[100:101], v[100:101], s[6:7], v[96:97]
	v_pk_add_f32 v[106:107], v[106:107], v[24:25]
	v_pk_fma_f32 v[100:101], v[22:23], s[0:1], v[100:101] op_sel_hi:[1,0,1]
	v_mov_b32_e32 v20, v95
	v_pk_add_f32 v[108:109], v[106:107], v[100:101]
	v_pk_add_f32 v[100:101], v[106:107], v[100:101] neg_lo:[0,1] neg_hi:[0,1]
	v_mov_b32_e32 v106, v108
	v_mov_b32_e32 v107, v101
	;; [unrolled: 1-line block ×3, first 2 shown]
	s_barrier
	ds_write2_b64 v215, v[26:27], v[106:107] offset1:33
	v_pk_add_f32 v[26:27], v[98:99], v[60:61] neg_lo:[0,1] neg_hi:[0,1]
	s_mov_b32 s8, 0xbf5ff5aa
	v_pk_add_f32 v[20:21], v[20:21], v[32:33] neg_lo:[0,1] neg_hi:[0,1]
	s_mov_b32 s18, 0x3f3bfb3b
	v_mov_b32_e32 v32, v104
	v_mov_b32_e32 v33, v59
	;; [unrolled: 1-line block ×6, first 2 shown]
	v_pk_fma_f32 v[32:33], v[20:21], s[18:19], v[32:33] op_sel_hi:[1,0,1] neg_lo:[1,0,1] neg_hi:[1,0,1]
	v_pk_fma_f32 v[34:35], v[26:27], s[8:9], v[34:35] op_sel_hi:[1,0,1] neg_lo:[1,0,1] neg_hi:[1,0,1]
	;; [unrolled: 1-line block ×4, first 2 shown]
	v_pk_add_f32 v[32:33], v[32:33], v[24:25]
	v_pk_fma_f32 v[34:35], v[22:23], s[0:1], v[34:35] op_sel_hi:[1,0,1]
	v_pk_add_f32 v[20:21], v[20:21], v[24:25]
	v_pk_fma_f32 v[22:23], v[22:23], s[0:1], v[26:27] op_sel_hi:[1,0,1]
	v_pk_add_f32 v[60:61], v[32:33], v[34:35]
	v_pk_add_f32 v[32:33], v[32:33], v[34:35] neg_lo:[0,1] neg_hi:[0,1]
	v_pk_add_f32 v[24:25], v[20:21], v[22:23] neg_lo:[0,1] neg_hi:[0,1]
	v_pk_add_f32 v[20:21], v[20:21], v[22:23]
	v_mov_b32_e32 v36, v42
	v_mov_b32_e32 v37, v42
	;; [unrolled: 1-line block ×30, first 2 shown]
	ds_write2_b64 v215, v[34:35], v[22:23] offset0:66 offset1:99
	ds_write2_b64 v215, v[20:21], v[32:33] offset0:132 offset1:165
	ds_write_b64 v215, v[100:101] offset:1584
	s_and_saveexec_b64 s[20:21], s[4:5]
	s_cbranch_execz .LBB0_31
; %bb.30:
	v_mov_b32_e32 v60, v3
	v_mov_b32_e32 v61, v7
	;; [unrolled: 1-line block ×4, first 2 shown]
	v_pk_mul_f32 v[60:61], v[60:61], v[94:95]
	v_mov_b32_e32 v95, v8
	v_mov_b32_e32 v101, v9
	v_pk_mul_f32 v[8:9], v[8:9], v[84:85]
	v_mov_b32_e32 v33, v6
	v_pk_mul_f32 v[6:7], v[6:7], v[14:15]
	v_mov_b32_e32 v14, v8
	v_mov_b32_e32 v8, v11
	;; [unrolled: 1-line block ×5, first 2 shown]
	v_pk_mul_f32 v[8:9], v[8:9], v[50:51]
	v_mov_b32_e32 v22, v5
	v_mov_b32_e32 v23, v3
	;; [unrolled: 1-line block ×8, first 2 shown]
	v_pk_fma_f32 v[8:9], v[10:11], v[54:55], v[8:9] neg_lo:[0,0,1] neg_hi:[0,0,1]
	v_mov_b32_e32 v10, v5
	v_mov_b32_e32 v20, v4
	;; [unrolled: 1-line block ×3, first 2 shown]
	v_pk_mul_f32 v[22:23], v[22:23], v[56:57]
	v_mov_b32_e32 v25, v0
	v_pk_mul_f32 v[26:27], v[26:27], v[54:55]
	v_mov_b32_e32 v32, v2
	v_mov_b32_e32 v34, v57
	;; [unrolled: 1-line block ×7, first 2 shown]
	v_pk_mul_f32 v[100:101], v[100:101], v[102:103]
	v_pk_mul_f32 v[10:11], v[10:11], v[52:53]
	v_pk_add_f32 v[6:7], v[14:15], v[6:7]
	v_pk_fma_f32 v[4:5], v[4:5], v[56:57], v[10:11] neg_lo:[0,0,1] neg_hi:[0,0,1]
	v_pk_fma_f32 v[54:55], v[24:25], v[50:51], v[26:27]
	v_pk_fma_f32 v[24:25], v[24:25], v[50:51], v[26:27] neg_lo:[0,0,1] neg_hi:[0,0,1]
	v_pk_fma_f32 v[26:27], v[20:21], v[52:53], v[22:23]
	v_pk_fma_f32 v[20:21], v[20:21], v[52:53], v[22:23] neg_lo:[0,0,1] neg_hi:[0,0,1]
	v_pk_fma_f32 v[0:1], v[0:1], v[96:97], v[100:101]
	v_pk_fma_f32 v[22:23], v[94:95], v[98:99], v[100:101] neg_lo:[0,0,1] neg_hi:[0,0,1]
	v_pk_fma_f32 v[2:3], v[2:3], v[34:35], v[60:61]
	v_pk_fma_f32 v[32:33], v[32:33], v[58:59], v[60:61] neg_lo:[0,0,1] neg_hi:[0,0,1]
	v_pk_add_f32 v[10:11], v[8:9], v[4:5]
	v_mov_b32_e32 v14, v7
	v_mov_b32_e32 v55, v25
	;; [unrolled: 1-line block ×7, first 2 shown]
	v_pk_add_f32 v[14:15], v[6:7], v[14:15]
	v_pk_add_f32 v[34:35], v[54:55], v[26:27]
	;; [unrolled: 1-line block ×3, first 2 shown]
	v_pk_add_f32 v[4:5], v[4:5], v[8:9] neg_lo:[0,1] neg_hi:[0,1]
	v_mov_b32_e32 v8, v21
	v_mov_b32_e32 v9, v2
	;; [unrolled: 1-line block ×7, first 2 shown]
	v_pk_add_f32 v[0:1], v[8:9], v[2:3] neg_lo:[0,1] neg_hi:[0,1]
	v_mov_b32_e32 v2, v33
	v_mov_b32_e32 v3, v7
	;; [unrolled: 1-line block ×4, first 2 shown]
	v_pk_add_f32 v[58:59], v[58:59], v[14:15] neg_lo:[0,1] neg_hi:[0,1]
	v_mov_b32_e32 v15, v51
	v_mov_b32_e32 v60, v34
	;; [unrolled: 1-line block ×3, first 2 shown]
	v_pk_add_f32 v[2:3], v[2:3], v[8:9] neg_lo:[0,1] neg_hi:[0,1]
	v_pk_add_f32 v[52:53], v[34:35], v[50:51] neg_lo:[0,1] neg_hi:[0,1]
	v_pk_add_f32 v[10:11], v[14:15], v[60:61]
	v_mov_b32_e32 v51, v35
	v_mov_b32_e32 v20, v0
	;; [unrolled: 1-line block ×5, first 2 shown]
	v_pk_add_f32 v[10:11], v[50:51], v[10:11]
	v_mov_b32_e32 v6, v4
	v_mov_b32_e32 v7, v1
	v_mov_b32_e32 v8, v0
	v_mov_b32_e32 v9, v3
	v_pk_add_f32 v[20:21], v[20:21], v[22:23] neg_lo:[0,1] neg_hi:[0,1]
	v_pk_mul_f32 v[58:59], v[58:59], s[24:25]
	v_pk_add_f32 v[12:13], v[12:13], v[10:11]
	v_pk_add_f32 v[6:7], v[6:7], v[8:9] neg_lo:[0,1] neg_hi:[0,1]
	v_pk_mul_f32 v[20:21], v[20:21], s[2:3]
	v_pk_add_f32 v[0:1], v[0:1], v[2:3]
	v_pk_mul_f32 v[56:57], v[52:53], s[26:27]
	v_pk_fma_f32 v[52:53], v[52:53], s[26:27], v[58:59]
	v_pk_fma_f32 v[10:11], v[10:11], s[22:23], v[12:13] op_sel_hi:[1,0,1]
	v_pk_mul_f32 v[8:9], v[6:7], s[6:7]
	v_pk_fma_f32 v[6:7], v[6:7], s[6:7], v[20:21]
	v_pk_add_f32 v[0:1], v[0:1], v[4:5]
	v_pk_add_f32 v[34:35], v[52:53], v[10:11]
	v_pk_fma_f32 v[6:7], v[0:1], s[0:1], v[6:7] op_sel_hi:[1,0,1]
	v_pk_add_f32 v[2:3], v[2:3], v[4:5] neg_lo:[0,1] neg_hi:[0,1]
	v_pk_add_f32 v[22:23], v[34:35], v[6:7] neg_lo:[0,1] neg_hi:[0,1]
	v_pk_add_f32 v[6:7], v[34:35], v[6:7]
	v_mov_b32_e32 v25, v23
	v_mov_b32_e32 v24, v6
	v_add_u32_e32 v6, 0x3000, v214
	v_mov_b32_e32 v4, v8
	v_mov_b32_e32 v5, v21
	;; [unrolled: 1-line block ×3, first 2 shown]
	ds_write2_b64 v6, v[12:13], v[24:25] offset0:81 offset1:114
	v_mov_b32_e32 v12, v56
	v_mov_b32_e32 v13, v59
	v_pk_add_f32 v[14:15], v[14:15], v[60:61] neg_lo:[0,1] neg_hi:[0,1]
	v_pk_fma_f32 v[4:5], v[2:3], s[8:9], v[4:5] op_sel_hi:[1,0,1] neg_lo:[1,0,1] neg_hi:[1,0,1]
	v_pk_fma_f32 v[2:3], v[2:3], s[8:9], v[20:21] op_sel_hi:[1,0,1] neg_lo:[0,0,1] neg_hi:[0,0,1]
	v_mov_b32_e32 v59, v57
	v_pk_fma_f32 v[12:13], v[14:15], s[18:19], v[12:13] op_sel_hi:[1,0,1] neg_lo:[1,0,1] neg_hi:[1,0,1]
	v_pk_fma_f32 v[4:5], v[0:1], s[0:1], v[4:5] op_sel_hi:[1,0,1]
	v_pk_fma_f32 v[0:1], v[0:1], s[0:1], v[2:3] op_sel_hi:[1,0,1]
	v_pk_fma_f32 v[2:3], v[14:15], s[18:19], v[58:59] op_sel_hi:[1,0,1] neg_lo:[0,0,1] neg_hi:[0,0,1]
	v_pk_add_f32 v[12:13], v[12:13], v[10:11]
	v_pk_add_f32 v[2:3], v[2:3], v[10:11]
	v_pk_add_f32 v[24:25], v[12:13], v[4:5] neg_lo:[0,1] neg_hi:[0,1]
	v_pk_add_f32 v[4:5], v[12:13], v[4:5]
	v_pk_add_f32 v[8:9], v[2:3], v[0:1]
	v_pk_add_f32 v[0:1], v[2:3], v[0:1] neg_lo:[0,1] neg_hi:[0,1]
	v_mov_b32_e32 v12, v4
	v_mov_b32_e32 v13, v25
	;; [unrolled: 1-line block ×7, first 2 shown]
	ds_write2_b64 v6, v[12:13], v[2:3] offset0:147 offset1:180
	ds_write2_b64 v6, v[8:9], v[24:25] offset0:213 offset1:246
	ds_write_b64 v214, v[22:23] offset:14520
.LBB0_31:
	s_or_b64 exec, exec, s[20:21]
	v_add_u32_e32 v26, 0xe00, v62
	s_waitcnt lgkmcnt(0)
	s_barrier
	ds_read2_b64 v[0:3], v26 offset0:14 offset1:245
	v_add_u32_e32 v27, 0x2b00, v62
	v_add_u32_e32 v21, 0x1c80, v62
	ds_read2_b64 v[4:7], v27 offset0:10 offset1:241
	ds_read2_b64 v[8:11], v62 offset1:231
	ds_read2_b64 v[12:15], v21 offset0:12 offset1:243
	s_waitcnt lgkmcnt(3)
	v_pk_mul_f32 v[22:23], v[48:49], v[0:1]
	s_waitcnt lgkmcnt(0)
	v_pk_fma_f32 v[24:25], v[46:47], v[0:1], v[22:23] op_sel:[0,0,1] op_sel_hi:[1,1,0]
	v_pk_fma_f32 v[0:1], v[46:47], v[0:1], v[22:23] op_sel:[0,0,1] op_sel_hi:[1,1,0] neg_lo:[0,0,1] neg_hi:[0,0,1]
	s_barrier
	v_mov_b32_e32 v25, v1
	v_pk_mul_f32 v[0:1], v[42:43], v[12:13]
	s_nop 0
	v_pk_fma_f32 v[22:23], v[36:37], v[12:13], v[0:1] op_sel:[0,0,1] op_sel_hi:[1,1,0]
	v_pk_fma_f32 v[0:1], v[36:37], v[12:13], v[0:1] op_sel:[0,0,1] op_sel_hi:[1,1,0] neg_lo:[0,0,1] neg_hi:[0,0,1]
	v_mov_b32_e32 v20, s16
	v_mov_b32_e32 v23, v1
	v_pk_mul_f32 v[0:1], v[44:45], v[4:5]
	s_mul_hi_u32 s5, s12, 0xfffffc17
	v_pk_fma_f32 v[12:13], v[38:39], v[4:5], v[0:1] op_sel:[0,0,1] op_sel_hi:[1,1,0]
	v_pk_fma_f32 v[0:1], v[38:39], v[4:5], v[0:1] op_sel:[0,0,1] op_sel_hi:[1,1,0] neg_lo:[0,0,1] neg_hi:[0,0,1]
	s_mul_i32 s4, s13, 0xfffffc17
	v_mov_b32_e32 v13, v1
	v_pk_add_f32 v[0:1], v[8:9], v[22:23] neg_lo:[0,1] neg_hi:[0,1]
	s_sub_i32 s5, s5, s12
	v_pk_fma_f32 v[4:5], v[8:9], 2.0, v[0:1] op_sel_hi:[1,0,1] neg_lo:[0,0,1] neg_hi:[0,0,1]
	v_pk_add_f32 v[8:9], v[24:25], v[12:13] neg_lo:[0,1] neg_hi:[0,1]
	s_add_i32 s5, s5, s4
	v_pk_fma_f32 v[12:13], v[24:25], 2.0, v[8:9] op_sel_hi:[1,0,1] neg_lo:[0,0,1] neg_hi:[0,0,1]
	v_pk_add_f32 v[22:23], v[0:1], v[8:9] op_sel:[0,1] op_sel_hi:[1,0]
	v_pk_add_f32 v[8:9], v[0:1], v[8:9] op_sel:[0,1] op_sel_hi:[1,0] neg_lo:[0,1] neg_hi:[0,1]
	v_pk_mul_f32 v[24:25], v[40:41], v[2:3] op_sel_hi:[1,0]
	v_mov_b32_e32 v8, v3
	v_mov_b32_e32 v23, v9
	v_pk_fma_f32 v[8:9], v[40:41], v[8:9], v[24:25] op_sel:[0,0,1] op_sel_hi:[1,1,0] neg_lo:[0,0,1] neg_hi:[0,0,1]
	v_pk_fma_f32 v[2:3], v[40:41], v[2:3], v[24:25] op_sel:[0,1,1] op_sel_hi:[1,1,0]
	v_pk_add_f32 v[12:13], v[4:5], v[12:13] neg_lo:[0,1] neg_hi:[0,1]
	v_mov_b32_e32 v9, v3
	v_pk_mul_f32 v[2:3], v[42:43], v[14:15]
	v_pk_fma_f32 v[4:5], v[4:5], 2.0, v[12:13] op_sel_hi:[1,0,1] neg_lo:[0,0,1] neg_hi:[0,0,1]
	v_pk_fma_f32 v[24:25], v[36:37], v[14:15], v[2:3] op_sel:[0,0,1] op_sel_hi:[1,1,0]
	v_pk_fma_f32 v[2:3], v[36:37], v[14:15], v[2:3] op_sel:[0,0,1] op_sel_hi:[1,1,0] neg_lo:[0,0,1] neg_hi:[0,0,1]
	v_pk_mul_f32 v[14:15], v[82:83], v[6:7] op_sel_hi:[1,0]
	v_mov_b32_e32 v2, v7
	v_mov_b32_e32 v25, v3
	v_pk_fma_f32 v[2:3], v[82:83], v[2:3], v[14:15] op_sel:[0,0,1] op_sel_hi:[1,1,0] neg_lo:[0,0,1] neg_hi:[0,0,1]
	v_pk_fma_f32 v[6:7], v[82:83], v[6:7], v[14:15] op_sel:[0,1,1] op_sel_hi:[1,1,0]
	v_pk_fma_f32 v[0:1], v[0:1], 2.0, v[22:23] op_sel_hi:[1,0,1] neg_lo:[0,0,1] neg_hi:[0,0,1]
	v_mov_b32_e32 v3, v7
	v_pk_add_f32 v[6:7], v[10:11], v[24:25] neg_lo:[0,1] neg_hi:[0,1]
	v_pk_add_f32 v[2:3], v[8:9], v[2:3] neg_lo:[0,1] neg_hi:[0,1]
	ds_write2_b64 v62, v[4:5], v[0:1] offset1:231
	ds_write2_b64 v26, v[12:13], v[22:23] offset0:14 offset1:245
	v_pk_add_f32 v[14:15], v[6:7], v[2:3]
	v_pk_add_f32 v[24:25], v[6:7], v[2:3] neg_lo:[0,1] neg_hi:[0,1]
	v_pk_fma_f32 v[4:5], v[10:11], 2.0, v[6:7] op_sel_hi:[1,0,1] neg_lo:[0,0,1] neg_hi:[0,0,1]
	v_pk_fma_f32 v[2:3], v[8:9], 2.0, v[2:3] op_sel_hi:[1,0,1] neg_lo:[0,0,1] neg_hi:[0,0,1]
	v_mov_b32_e32 v15, v25
	v_pk_add_f32 v[2:3], v[4:5], v[2:3] op_sel:[0,1] op_sel_hi:[1,0] neg_lo:[0,1] neg_hi:[0,1]
	v_pk_fma_f32 v[0:1], v[6:7], 2.0, v[14:15] op_sel_hi:[1,0,1] neg_lo:[0,0,1] neg_hi:[0,0,1]
	v_pk_fma_f32 v[4:5], v[4:5], 2.0, v[2:3] op_sel_hi:[1,0,1] neg_lo:[0,0,1] neg_hi:[0,0,1]
	ds_write2_b64 v21, v[4:5], v[0:1] offset0:12 offset1:243
	ds_write2_b64 v27, v[2:3], v[14:15] offset0:10 offset1:241
	s_waitcnt lgkmcnt(0)
	s_barrier
	ds_read2_b64 v[0:3], v21 offset0:12 offset1:243
	ds_read2_b64 v[4:7], v62 offset1:231
	v_mad_u64_u32 v[8:9], s[0:1], s14, v68, 0
	v_mov_b32_e32 v21, s17
	s_waitcnt lgkmcnt(1)
	v_pk_mul_f32 v[10:11], v[92:93], v[0:1]
	s_mul_i32 s4, s12, 0xfffffc17
	v_pk_fma_f32 v[12:13], v[30:31], v[0:1], v[10:11] op_sel:[0,0,1] op_sel_hi:[1,1,0]
	v_pk_fma_f32 v[0:1], v[30:31], v[0:1], v[10:11] op_sel:[0,0,1] op_sel_hi:[1,1,0] neg_lo:[0,0,1] neg_hi:[0,0,1]
	s_nop 0
	v_mov_b32_e32 v13, v1
	v_pk_mul_f32 v[0:1], v[90:91], v[2:3]
	s_waitcnt lgkmcnt(0)
	v_pk_add_f32 v[12:13], v[4:5], v[12:13] neg_lo:[0,1] neg_hi:[0,1]
	v_pk_fma_f32 v[10:11], v[28:29], v[2:3], v[0:1] op_sel:[0,0,1] op_sel_hi:[1,1,0]
	v_pk_fma_f32 v[0:1], v[28:29], v[2:3], v[0:1] op_sel:[0,0,1] op_sel_hi:[1,1,0] neg_lo:[0,0,1] neg_hi:[0,0,1]
	v_pk_fma_f32 v[14:15], v[4:5], 2.0, v[12:13] op_sel_hi:[1,0,1] neg_lo:[0,0,1] neg_hi:[0,0,1]
	v_mov_b32_e32 v11, v1
	v_pk_add_f32 v[10:11], v[6:7], v[10:11] neg_lo:[0,1] neg_hi:[0,1]
	ds_write_b64 v62, v[10:11] offset:9240
	ds_read2_b64 v[0:3], v27 offset0:10 offset1:241
	v_pk_fma_f32 v[10:11], v[6:7], 2.0, v[10:11] op_sel_hi:[1,0,1] neg_lo:[0,0,1] neg_hi:[0,0,1]
	ds_read2_b64 v[4:7], v26 offset0:14 offset1:245
	ds_write2_b64 v62, v[14:15], v[10:11] offset1:231
	s_waitcnt lgkmcnt(2)
	v_pk_mul_f32 v[22:23], v[88:89], v[0:1]
	v_pk_mul_f32 v[10:11], v[86:87], v[2:3]
	v_pk_fma_f32 v[24:25], v[18:19], v[0:1], v[22:23] op_sel:[0,0,1] op_sel_hi:[1,1,0]
	v_pk_fma_f32 v[0:1], v[18:19], v[0:1], v[22:23] op_sel:[0,0,1] op_sel_hi:[1,1,0] neg_lo:[0,0,1] neg_hi:[0,0,1]
	v_pk_fma_f32 v[14:15], v[16:17], v[2:3], v[10:11] op_sel:[0,0,1] op_sel_hi:[1,1,0]
	v_pk_fma_f32 v[2:3], v[16:17], v[2:3], v[10:11] op_sel:[0,0,1] op_sel_hi:[1,1,0] neg_lo:[0,0,1] neg_hi:[0,0,1]
	v_mov_b32_e32 v25, v1
	v_mov_b32_e32 v15, v3
	s_waitcnt lgkmcnt(1)
	v_pk_add_f32 v[0:1], v[4:5], v[24:25] neg_lo:[0,1] neg_hi:[0,1]
	v_pk_add_f32 v[2:3], v[6:7], v[14:15] neg_lo:[0,1] neg_hi:[0,1]
	v_pk_fma_f32 v[4:5], v[4:5], 2.0, v[0:1] op_sel_hi:[1,0,1] neg_lo:[0,0,1] neg_hi:[0,0,1]
	v_pk_fma_f32 v[6:7], v[6:7], 2.0, v[2:3] op_sel_hi:[1,0,1] neg_lo:[0,0,1] neg_hi:[0,0,1]
	ds_write_b64 v62, v[12:13] offset:7392
	ds_write2_b64 v26, v[4:5], v[6:7] offset0:14 offset1:245
	ds_write2_b64 v27, v[0:1], v[2:3] offset0:10 offset1:241
	s_waitcnt lgkmcnt(0)
	s_barrier
	ds_read2_b64 v[0:3], v62 offset1:231
	v_mov_b32_e32 v4, v9
	v_mad_u64_u32 v[4:5], s[0:1], s15, v68, v[4:5]
	v_mov_b32_e32 v9, v4
	s_waitcnt lgkmcnt(0)
	v_mul_f32_e32 v4, v81, v1
	v_fmac_f32_e32 v4, v80, v0
	v_mul_f32_e32 v0, v81, v0
	s_mov_b32 s0, 0x4046ed29
	v_fma_f32 v0, v80, v1, -v0
	s_mov_b32 s1, 0x3f41bb4a
	v_cvt_f64_f32_e32 v[0:1], v0
	v_cvt_f64_f32_e32 v[4:5], v4
	v_mul_f64 v[0:1], v[0:1], s[0:1]
	v_mul_f64 v[4:5], v[4:5], s[0:1]
	v_cvt_f32_f64_e32 v11, v[0:1]
	v_mad_u64_u32 v[0:1], s[2:3], s12, v66, 0
	v_cvt_f32_f64_e32 v10, v[4:5]
	v_mov_b32_e32 v4, v1
	v_add_u32_e32 v1, 0x1300, v62
	v_mad_u64_u32 v[12:13], s[2:3], s13, v66, v[4:5]
	ds_read2_b64 v[4:7], v1 offset0:8 offset1:239
	v_mov_b32_e32 v1, v12
	v_lshl_add_u64 v[8:9], v[8:9], 3, v[20:21]
	v_lshl_add_u64 v[0:1], v[0:1], 3, v[8:9]
	global_store_dwordx2 v[0:1], v[10:11], off
	s_waitcnt lgkmcnt(0)
	v_mul_f32_e32 v8, v79, v5
	v_fmac_f32_e32 v8, v78, v4
	v_mul_f32_e32 v4, v79, v4
	v_fma_f32 v4, v78, v5, -v4
	v_cvt_f64_f32_e32 v[4:5], v4
	v_cvt_f64_f32_e32 v[8:9], v8
	v_mul_f64 v[4:5], v[4:5], s[0:1]
	v_mul_f64 v[8:9], v[8:9], s[0:1]
	v_cvt_f32_f64_e32 v13, v[4:5]
	v_add_u32_e32 v4, 0x2600, v62
	v_cvt_f32_f64_e32 v12, v[8:9]
	ds_read2_b64 v[8:11], v4 offset0:16 offset1:247
	s_mul_i32 s2, s13, 0x268
	s_mul_hi_u32 s3, s12, 0x268
	s_add_i32 s3, s3, s2
	s_mul_i32 s2, s12, 0x268
	s_waitcnt lgkmcnt(0)
	v_mul_f32_e32 v4, v75, v9
	v_fmac_f32_e32 v4, v74, v8
	v_cvt_f64_f32_e32 v[4:5], v4
	v_mul_f64 v[4:5], v[4:5], s[0:1]
	v_cvt_f32_f64_e32 v4, v[4:5]
	v_mul_f32_e32 v5, v75, v8
	v_fma_f32 v5, v74, v9, -v5
	s_lshl_b64 s[2:3], s[2:3], 3
	v_cvt_f64_f32_e32 v[8:9], v5
	v_lshl_add_u64 v[0:1], v[0:1], 0, s[2:3]
	v_mul_f64 v[8:9], v[8:9], s[0:1]
	global_store_dwordx2 v[0:1], v[12:13], off
	v_cvt_f32_f64_e32 v5, v[8:9]
	v_lshl_add_u64 v[0:1], v[0:1], 0, s[2:3]
	global_store_dwordx2 v[0:1], v[4:5], off
	v_mul_f32_e32 v4, v77, v3
	v_fmac_f32_e32 v4, v76, v2
	v_mul_f32_e32 v2, v77, v2
	v_fma_f32 v2, v76, v3, -v2
	v_cvt_f64_f32_e32 v[4:5], v4
	v_cvt_f64_f32_e32 v[2:3], v2
	v_mul_f64 v[4:5], v[4:5], s[0:1]
	v_mul_f64 v[2:3], v[2:3], s[0:1]
	v_cvt_f32_f64_e32 v4, v[4:5]
	v_cvt_f32_f64_e32 v5, v[2:3]
	v_mul_f32_e32 v2, v73, v7
	v_fmac_f32_e32 v2, v72, v6
	v_cvt_f64_f32_e32 v[2:3], v2
	v_mul_f64 v[2:3], v[2:3], s[0:1]
	v_cvt_f32_f64_e32 v2, v[2:3]
	v_mul_f32_e32 v3, v73, v6
	v_lshl_add_u64 v[0:1], s[4:5], 3, v[0:1]
	v_fma_f32 v3, v72, v7, -v3
	global_store_dwordx2 v[0:1], v[4:5], off
	v_cvt_f64_f32_e32 v[4:5], v3
	v_mul_f64 v[4:5], v[4:5], s[0:1]
	v_cvt_f32_f64_e32 v3, v[4:5]
	v_lshl_add_u64 v[0:1], v[0:1], 0, s[2:3]
	global_store_dwordx2 v[0:1], v[2:3], off
	v_mul_f32_e32 v2, v71, v11
	v_fmac_f32_e32 v2, v70, v10
	v_cvt_f64_f32_e32 v[2:3], v2
	v_mul_f64 v[2:3], v[2:3], s[0:1]
	v_cvt_f32_f64_e32 v2, v[2:3]
	v_mul_f32_e32 v3, v71, v10
	v_fma_f32 v3, v70, v11, -v3
	v_cvt_f64_f32_e32 v[4:5], v3
	v_mul_f64 v[4:5], v[4:5], s[0:1]
	v_cvt_f32_f64_e32 v3, v[4:5]
	v_lshl_add_u64 v[0:1], v[0:1], 0, s[2:3]
	global_store_dwordx2 v[0:1], v[2:3], off
	s_and_b64 exec, exec, s[10:11]
	s_cbranch_execz .LBB0_33
; %bb.32:
	s_movk_i32 s6, 0x2000
	v_add_co_u32_e32 v4, vcc, s6, v64
	global_load_dwordx2 v[2:3], v[64:65], off offset:3696
	s_nop 0
	v_addc_co_u32_e32 v5, vcc, 0, v65, vcc
	s_movk_i32 s6, 0x3000
	v_add_co_u32_e32 v6, vcc, s6, v64
	global_load_dwordx2 v[4:5], v[4:5], off offset:432
	s_nop 0
	v_addc_co_u32_e32 v7, vcc, 0, v65, vcc
	global_load_dwordx2 v[6:7], v[6:7], off offset:1264
	ds_read_b64 v[8:9], v62 offset:3696
	ds_read_b64 v[10:11], v62 offset:8624
	;; [unrolled: 1-line block ×3, first 2 shown]
	v_lshl_add_u64 v[0:1], s[4:5], 3, v[0:1]
	v_lshl_add_u64 v[14:15], v[0:1], 0, s[2:3]
	;; [unrolled: 1-line block ×3, first 2 shown]
	s_waitcnt vmcnt(2) lgkmcnt(2)
	v_mul_f32_e32 v18, v9, v3
	v_mul_f32_e32 v3, v8, v3
	v_fmac_f32_e32 v18, v8, v2
	v_fma_f32 v8, v2, v9, -v3
	v_cvt_f64_f32_e32 v[2:3], v18
	v_cvt_f64_f32_e32 v[8:9], v8
	s_waitcnt vmcnt(1) lgkmcnt(1)
	v_mul_f32_e32 v18, v11, v5
	v_mul_f32_e32 v5, v10, v5
	v_mul_f64 v[2:3], v[2:3], s[0:1]
	s_waitcnt vmcnt(0) lgkmcnt(0)
	v_mul_f32_e32 v19, v13, v7
	v_mul_f32_e32 v7, v12, v7
	v_mul_f64 v[8:9], v[8:9], s[0:1]
	v_fmac_f32_e32 v18, v10, v4
	v_fma_f32 v10, v4, v11, -v5
	v_fmac_f32_e32 v19, v12, v6
	v_fma_f32 v11, v6, v13, -v7
	v_cvt_f32_f64_e32 v2, v[2:3]
	v_cvt_f32_f64_e32 v3, v[8:9]
	v_cvt_f64_f32_e32 v[4:5], v18
	v_cvt_f64_f32_e32 v[6:7], v10
	;; [unrolled: 1-line block ×4, first 2 shown]
	global_store_dwordx2 v[0:1], v[2:3], off
	v_mul_f64 v[0:1], v[4:5], s[0:1]
	v_mul_f64 v[2:3], v[6:7], s[0:1]
	;; [unrolled: 1-line block ×4, first 2 shown]
	v_cvt_f32_f64_e32 v0, v[0:1]
	v_cvt_f32_f64_e32 v1, v[2:3]
	;; [unrolled: 1-line block ×4, first 2 shown]
	global_store_dwordx2 v[14:15], v[0:1], off
	global_store_dwordx2 v[16:17], v[2:3], off
.LBB0_33:
	s_endpgm
	.section	.rodata,"a",@progbits
	.p2align	6, 0x0
	.amdhsa_kernel bluestein_single_fwd_len1848_dim1_sp_op_CI_CI
		.amdhsa_group_segment_fixed_size 14784
		.amdhsa_private_segment_fixed_size 0
		.amdhsa_kernarg_size 104
		.amdhsa_user_sgpr_count 2
		.amdhsa_user_sgpr_dispatch_ptr 0
		.amdhsa_user_sgpr_queue_ptr 0
		.amdhsa_user_sgpr_kernarg_segment_ptr 1
		.amdhsa_user_sgpr_dispatch_id 0
		.amdhsa_user_sgpr_kernarg_preload_length 0
		.amdhsa_user_sgpr_kernarg_preload_offset 0
		.amdhsa_user_sgpr_private_segment_size 0
		.amdhsa_uses_dynamic_stack 0
		.amdhsa_enable_private_segment 0
		.amdhsa_system_sgpr_workgroup_id_x 1
		.amdhsa_system_sgpr_workgroup_id_y 0
		.amdhsa_system_sgpr_workgroup_id_z 0
		.amdhsa_system_sgpr_workgroup_info 0
		.amdhsa_system_vgpr_workitem_id 0
		.amdhsa_next_free_vgpr 256
		.amdhsa_next_free_sgpr 46
		.amdhsa_accum_offset 256
		.amdhsa_reserve_vcc 1
		.amdhsa_float_round_mode_32 0
		.amdhsa_float_round_mode_16_64 0
		.amdhsa_float_denorm_mode_32 3
		.amdhsa_float_denorm_mode_16_64 3
		.amdhsa_dx10_clamp 1
		.amdhsa_ieee_mode 1
		.amdhsa_fp16_overflow 0
		.amdhsa_tg_split 0
		.amdhsa_exception_fp_ieee_invalid_op 0
		.amdhsa_exception_fp_denorm_src 0
		.amdhsa_exception_fp_ieee_div_zero 0
		.amdhsa_exception_fp_ieee_overflow 0
		.amdhsa_exception_fp_ieee_underflow 0
		.amdhsa_exception_fp_ieee_inexact 0
		.amdhsa_exception_int_div_zero 0
	.end_amdhsa_kernel
	.text
.Lfunc_end0:
	.size	bluestein_single_fwd_len1848_dim1_sp_op_CI_CI, .Lfunc_end0-bluestein_single_fwd_len1848_dim1_sp_op_CI_CI
                                        ; -- End function
	.section	.AMDGPU.csdata,"",@progbits
; Kernel info:
; codeLenInByte = 13320
; NumSgprs: 52
; NumVgprs: 256
; NumAgprs: 0
; TotalNumVgprs: 256
; ScratchSize: 0
; MemoryBound: 0
; FloatMode: 240
; IeeeMode: 1
; LDSByteSize: 14784 bytes/workgroup (compile time only)
; SGPRBlocks: 6
; VGPRBlocks: 31
; NumSGPRsForWavesPerEU: 52
; NumVGPRsForWavesPerEU: 256
; AccumOffset: 256
; Occupancy: 2
; WaveLimiterHint : 1
; COMPUTE_PGM_RSRC2:SCRATCH_EN: 0
; COMPUTE_PGM_RSRC2:USER_SGPR: 2
; COMPUTE_PGM_RSRC2:TRAP_HANDLER: 0
; COMPUTE_PGM_RSRC2:TGID_X_EN: 1
; COMPUTE_PGM_RSRC2:TGID_Y_EN: 0
; COMPUTE_PGM_RSRC2:TGID_Z_EN: 0
; COMPUTE_PGM_RSRC2:TIDIG_COMP_CNT: 0
; COMPUTE_PGM_RSRC3_GFX90A:ACCUM_OFFSET: 63
; COMPUTE_PGM_RSRC3_GFX90A:TG_SPLIT: 0
	.text
	.p2alignl 6, 3212836864
	.fill 256, 4, 3212836864
	.type	__hip_cuid_138f1a9c6b90d93,@object ; @__hip_cuid_138f1a9c6b90d93
	.section	.bss,"aw",@nobits
	.globl	__hip_cuid_138f1a9c6b90d93
__hip_cuid_138f1a9c6b90d93:
	.byte	0                               ; 0x0
	.size	__hip_cuid_138f1a9c6b90d93, 1

	.ident	"AMD clang version 19.0.0git (https://github.com/RadeonOpenCompute/llvm-project roc-6.4.0 25133 c7fe45cf4b819c5991fe208aaa96edf142730f1d)"
	.section	".note.GNU-stack","",@progbits
	.addrsig
	.addrsig_sym __hip_cuid_138f1a9c6b90d93
	.amdgpu_metadata
---
amdhsa.kernels:
  - .agpr_count:     0
    .args:
      - .actual_access:  read_only
        .address_space:  global
        .offset:         0
        .size:           8
        .value_kind:     global_buffer
      - .actual_access:  read_only
        .address_space:  global
        .offset:         8
        .size:           8
        .value_kind:     global_buffer
      - .actual_access:  read_only
        .address_space:  global
        .offset:         16
        .size:           8
        .value_kind:     global_buffer
      - .actual_access:  read_only
        .address_space:  global
        .offset:         24
        .size:           8
        .value_kind:     global_buffer
      - .actual_access:  read_only
        .address_space:  global
        .offset:         32
        .size:           8
        .value_kind:     global_buffer
      - .offset:         40
        .size:           8
        .value_kind:     by_value
      - .address_space:  global
        .offset:         48
        .size:           8
        .value_kind:     global_buffer
      - .address_space:  global
        .offset:         56
        .size:           8
        .value_kind:     global_buffer
      - .address_space:  global
        .offset:         64
        .size:           8
        .value_kind:     global_buffer
      - .address_space:  global
        .offset:         72
        .size:           8
        .value_kind:     global_buffer
      - .offset:         80
        .size:           4
        .value_kind:     by_value
      - .address_space:  global
        .offset:         88
        .size:           8
        .value_kind:     global_buffer
      - .address_space:  global
        .offset:         96
        .size:           8
        .value_kind:     global_buffer
    .group_segment_fixed_size: 14784
    .kernarg_segment_align: 8
    .kernarg_segment_size: 104
    .language:       OpenCL C
    .language_version:
      - 2
      - 0
    .max_flat_workgroup_size: 231
    .name:           bluestein_single_fwd_len1848_dim1_sp_op_CI_CI
    .private_segment_fixed_size: 0
    .sgpr_count:     52
    .sgpr_spill_count: 0
    .symbol:         bluestein_single_fwd_len1848_dim1_sp_op_CI_CI.kd
    .uniform_work_group_size: 1
    .uses_dynamic_stack: false
    .vgpr_count:     256
    .vgpr_spill_count: 0
    .wavefront_size: 64
amdhsa.target:   amdgcn-amd-amdhsa--gfx950
amdhsa.version:
  - 1
  - 2
...

	.end_amdgpu_metadata
